;; amdgpu-corpus repo=zjin-lcf/HeCBench kind=compiled arch=gfx1100 opt=O3
	.text
	.amdgcn_target "amdgcn-amd-amdhsa--gfx1100"
	.amdhsa_code_object_version 6
	.protected	_Z20kernelUpdateParticlePfS_PKfS1_iff ; -- Begin function _Z20kernelUpdateParticlePfS_PKfS1_iff
	.globl	_Z20kernelUpdateParticlePfS_PKfS1_iff
	.p2align	8
	.type	_Z20kernelUpdateParticlePfS_PKfS1_iff,@function
_Z20kernelUpdateParticlePfS_PKfS1_iff:  ; @_Z20kernelUpdateParticlePfS_PKfS1_iff
; %bb.0:
	s_clause 0x1
	s_load_b32 s2, s[0:1], 0x3c
	s_load_b128 s[4:7], s[0:1], 0x20
	s_waitcnt lgkmcnt(0)
	s_and_b32 s2, s2, 0xffff
	s_delay_alu instid0(SALU_CYCLE_1)
	v_mad_u64_u32 v[1:2], null, s15, s2, v[0:1]
	s_mul_i32 s2, s4, 30
	s_delay_alu instid0(VALU_DEP_1) | instid1(SALU_CYCLE_1)
	v_cmp_gt_i32_e32 vcc_lo, s2, v1
	s_and_saveexec_b32 s2, vcc_lo
	s_cbranch_execz .LBB0_2
; %bb.1:
	v_mul_hi_i32 v0, 0x88888889, v1
	s_load_b256 s[8:15], s[0:1], 0x0
	v_ashrrev_i32_e32 v2, 31, v1
	s_delay_alu instid0(VALU_DEP_2) | instskip(NEXT) | instid1(VALU_DEP_1)
	v_add_nc_u32_e32 v0, v0, v1
	v_lshrrev_b32_e32 v3, 31, v0
	v_ashrrev_i32_e32 v0, 4, v0
	s_delay_alu instid0(VALU_DEP_1) | instskip(SKIP_1) | instid1(VALU_DEP_2)
	v_add_nc_u32_e32 v0, v0, v3
	v_lshlrev_b64 v[2:3], 2, v[1:2]
	v_mul_lo_u32 v0, v0, 30
	s_waitcnt lgkmcnt(0)
	s_delay_alu instid0(VALU_DEP_2) | instskip(NEXT) | instid1(VALU_DEP_3)
	v_add_co_u32 v4, vcc_lo, s12, v2
	v_add_co_ci_u32_e32 v5, vcc_lo, s13, v3, vcc_lo
	v_add_co_u32 v6, vcc_lo, s8, v2
	s_delay_alu instid0(VALU_DEP_4)
	v_sub_nc_u32_e32 v0, v1, v0
	v_add_co_ci_u32_e32 v7, vcc_lo, s9, v3, vcc_lo
	global_load_b32 v4, v[4:5], off
	global_load_b32 v5, v[6:7], off
	v_ashrrev_i32_e32 v1, 31, v0
	v_add_co_u32 v2, vcc_lo, s10, v2
	v_add_co_ci_u32_e32 v3, vcc_lo, s11, v3, vcc_lo
	s_delay_alu instid0(VALU_DEP_3) | instskip(NEXT) | instid1(VALU_DEP_1)
	v_lshlrev_b64 v[0:1], 2, v[0:1]
	v_add_co_u32 v0, vcc_lo, s14, v0
	s_delay_alu instid0(VALU_DEP_2)
	v_add_co_ci_u32_e32 v1, vcc_lo, s15, v1, vcc_lo
	global_load_b32 v8, v[2:3], off
	global_load_b32 v0, v[0:1], off
	v_mul_f32_e64 v1, 0x3fc00000, s5
	s_waitcnt vmcnt(2)
	v_sub_f32_e32 v4, v4, v5
	s_delay_alu instid0(VALU_DEP_1) | instskip(SKIP_2) | instid1(VALU_DEP_2)
	v_mul_f32_e32 v1, v1, v4
	v_mul_f32_e64 v4, 0x3fc00000, s6
	s_waitcnt vmcnt(0)
	v_dual_fmac_f32 v1, 0.5, v8 :: v_dual_sub_f32 v0, v0, v5
	s_delay_alu instid0(VALU_DEP_1) | instskip(NEXT) | instid1(VALU_DEP_1)
	v_fmac_f32_e32 v1, v4, v0
	v_add_f32_e32 v0, v5, v1
	global_store_b32 v[2:3], v1, off
	global_store_b32 v[6:7], v0, off
.LBB0_2:
	s_nop 0
	s_sendmsg sendmsg(MSG_DEALLOC_VGPRS)
	s_endpgm
	.section	.rodata,"a",@progbits
	.p2align	6, 0x0
	.amdhsa_kernel _Z20kernelUpdateParticlePfS_PKfS1_iff
		.amdhsa_group_segment_fixed_size 0
		.amdhsa_private_segment_fixed_size 0
		.amdhsa_kernarg_size 304
		.amdhsa_user_sgpr_count 15
		.amdhsa_user_sgpr_dispatch_ptr 0
		.amdhsa_user_sgpr_queue_ptr 0
		.amdhsa_user_sgpr_kernarg_segment_ptr 1
		.amdhsa_user_sgpr_dispatch_id 0
		.amdhsa_user_sgpr_private_segment_size 0
		.amdhsa_wavefront_size32 1
		.amdhsa_uses_dynamic_stack 0
		.amdhsa_enable_private_segment 0
		.amdhsa_system_sgpr_workgroup_id_x 1
		.amdhsa_system_sgpr_workgroup_id_y 0
		.amdhsa_system_sgpr_workgroup_id_z 0
		.amdhsa_system_sgpr_workgroup_info 0
		.amdhsa_system_vgpr_workitem_id 0
		.amdhsa_next_free_vgpr 9
		.amdhsa_next_free_sgpr 16
		.amdhsa_reserve_vcc 1
		.amdhsa_float_round_mode_32 0
		.amdhsa_float_round_mode_16_64 0
		.amdhsa_float_denorm_mode_32 3
		.amdhsa_float_denorm_mode_16_64 3
		.amdhsa_dx10_clamp 1
		.amdhsa_ieee_mode 1
		.amdhsa_fp16_overflow 0
		.amdhsa_workgroup_processor_mode 1
		.amdhsa_memory_ordered 1
		.amdhsa_forward_progress 0
		.amdhsa_shared_vgpr_count 0
		.amdhsa_exception_fp_ieee_invalid_op 0
		.amdhsa_exception_fp_denorm_src 0
		.amdhsa_exception_fp_ieee_div_zero 0
		.amdhsa_exception_fp_ieee_overflow 0
		.amdhsa_exception_fp_ieee_underflow 0
		.amdhsa_exception_fp_ieee_inexact 0
		.amdhsa_exception_int_div_zero 0
	.end_amdhsa_kernel
	.text
.Lfunc_end0:
	.size	_Z20kernelUpdateParticlePfS_PKfS1_iff, .Lfunc_end0-_Z20kernelUpdateParticlePfS_PKfS1_iff
                                        ; -- End function
	.section	.AMDGPU.csdata,"",@progbits
; Kernel info:
; codeLenInByte = 336
; NumSgprs: 18
; NumVgprs: 9
; ScratchSize: 0
; MemoryBound: 0
; FloatMode: 240
; IeeeMode: 1
; LDSByteSize: 0 bytes/workgroup (compile time only)
; SGPRBlocks: 2
; VGPRBlocks: 1
; NumSGPRsForWavesPerEU: 18
; NumVGPRsForWavesPerEU: 9
; Occupancy: 16
; WaveLimiterHint : 0
; COMPUTE_PGM_RSRC2:SCRATCH_EN: 0
; COMPUTE_PGM_RSRC2:USER_SGPR: 15
; COMPUTE_PGM_RSRC2:TRAP_HANDLER: 0
; COMPUTE_PGM_RSRC2:TGID_X_EN: 1
; COMPUTE_PGM_RSRC2:TGID_Y_EN: 0
; COMPUTE_PGM_RSRC2:TGID_Z_EN: 0
; COMPUTE_PGM_RSRC2:TIDIG_COMP_CNT: 0
	.text
	.protected	_Z17kernelUpdatePBestPKfPfS1_i ; -- Begin function _Z17kernelUpdatePBestPKfPfS1_i
	.globl	_Z17kernelUpdatePBestPKfPfS1_i
	.p2align	8
	.type	_Z17kernelUpdatePBestPKfPfS1_i,@function
_Z17kernelUpdatePBestPKfPfS1_i:         ; @_Z17kernelUpdatePBestPKfPfS1_i
; %bb.0:
	s_clause 0x1
	s_load_b32 s2, s[0:1], 0x2c
	s_load_b32 s3, s[0:1], 0x18
	s_waitcnt lgkmcnt(0)
	s_and_b32 s2, s2, 0xffff
	s_delay_alu instid0(SALU_CYCLE_1) | instskip(SKIP_1) | instid1(VALU_DEP_1)
	v_mad_u64_u32 v[1:2], null, s15, s2, v[0:1]
	s_mov_b32 s2, exec_lo
	v_cmpx_gt_i32_e64 s3, v1
	s_cbranch_execz .LBB1_212
; %bb.1:
	s_load_b128 s[4:7], s[0:1], 0x0
	v_mul_lo_u32 v0, v1, 30
	s_delay_alu instid0(VALU_DEP_1) | instskip(NEXT) | instid1(VALU_DEP_1)
	v_ashrrev_i32_e32 v1, 31, v0
	v_lshlrev_b64 v[0:1], 2, v[0:1]
	s_waitcnt lgkmcnt(0)
	s_delay_alu instid0(VALU_DEP_1) | instskip(NEXT) | instid1(VALU_DEP_2)
	v_add_co_u32 v54, vcc_lo, s4, v0
	v_add_co_ci_u32_e32 v55, vcc_lo, s5, v1, vcc_lo
	v_add_co_u32 v0, vcc_lo, s6, v0
	v_add_co_ci_u32_e32 v1, vcc_lo, s7, v1, vcc_lo
	s_clause 0x1
	global_load_b128 v[2:5], v[54:55], off
	global_load_b128 v[6:9], v[54:55], off offset:16
	s_waitcnt vmcnt(1)
	scratch_store_b128 off, v[2:5], off
	scratch_load_b32 v58, off, off
	s_clause 0x1
	global_load_b128 v[10:13], v[0:1], off
	global_load_b128 v[14:17], v[0:1], off offset:16
	s_clause 0x1
	global_load_b128 v[18:21], v[54:55], off offset:32
	global_load_b128 v[22:25], v[54:55], off offset:48
	s_clause 0x1
	global_load_b128 v[26:29], v[0:1], off offset:32
	;; [unrolled: 3-line block ×5, first 2 shown]
	global_load_b64 v[2:3], v[54:55], off offset:112
	s_clause 0x1
	global_load_b128 v[54:57], v[0:1], off offset:96
	global_load_b64 v[4:5], v[0:1], off offset:112
	v_mov_b32_e32 v59, 1.0
	s_waitcnt vmcnt(15)
	scratch_store_b128 off, v[6:9], off offset:16
	s_waitcnt vmcnt(13)
	scratch_store_b128 off, v[10:13], off offset:128
	;; [unrolled: 2-line block ×3, first 2 shown]
	v_add_f32_e32 v58, -1.0, v58
	s_waitcnt vmcnt(11)
	scratch_store_b128 off, v[18:21], off offset:32
	s_waitcnt vmcnt(10)
	scratch_store_b128 off, v[22:25], off offset:48
	;; [unrolled: 2-line block ×8, first 2 shown]
	v_fmamk_f32 v6, v58, 0x3e800000, v59
	s_waitcnt vmcnt(3)
	scratch_store_b128 off, v[50:53], off offset:96
	s_waitcnt vmcnt(2)
	scratch_store_b64 off, v[2:3], off offset:112
	s_waitcnt vmcnt(1)
	scratch_store_b128 off, v[54:57], off offset:224
	s_waitcnt vmcnt(0)
	scratch_store_b64 off, v[4:5], off offset:240
                                        ; implicit-def: $vgpr4
                                        ; implicit-def: $vgpr2
	v_mul_f32_e32 v6, 0x40490e56, v6
	s_delay_alu instid0(VALU_DEP_1) | instskip(SKIP_1) | instid1(VALU_DEP_1)
	v_and_b32_e32 v7, 0x7fffffff, v6
	v_cmp_ngt_f32_e64 s8, 0x48000000, |v6|
	s_and_saveexec_b32 s2, s8
	s_delay_alu instid0(SALU_CYCLE_1)
	s_xor_b32 s5, exec_lo, s2
	s_cbranch_execz .LBB1_3
; %bb.2:
	s_mov_b32 s2, 0x7fffff
	s_delay_alu instid0(SALU_CYCLE_1) | instskip(NEXT) | instid1(VALU_DEP_1)
	v_and_or_b32 v2, v7, s2, 0x800000
	v_mad_u64_u32 v[4:5], null, 0xfe5163ab, v2, 0
	s_delay_alu instid0(VALU_DEP_1) | instskip(SKIP_1) | instid1(VALU_DEP_2)
	v_dual_mov_b32 v9, 0 :: v_dual_mov_b32 v8, v5
	v_lshrrev_b32_e32 v5, 23, v7
	v_mad_u64_u32 v[10:11], null, 0x3c439041, v2, v[8:9]
	s_delay_alu instid0(VALU_DEP_2) | instskip(NEXT) | instid1(VALU_DEP_1)
	v_add_nc_u32_e32 v5, 0xffffff88, v5
	v_cmp_lt_u32_e32 vcc_lo, 63, v5
	s_delay_alu instid0(VALU_DEP_3) | instskip(SKIP_1) | instid1(VALU_DEP_2)
	v_mov_b32_e32 v8, v11
	v_cndmask_b32_e64 v15, 0, 0xffffffc0, vcc_lo
	v_mad_u64_u32 v[11:12], null, 0xdb629599, v2, v[8:9]
	s_delay_alu instid0(VALU_DEP_1) | instskip(NEXT) | instid1(VALU_DEP_2)
	v_dual_mov_b32 v8, v12 :: v_dual_add_nc_u32 v5, v15, v5
	v_cndmask_b32_e32 v4, v11, v4, vcc_lo
	s_delay_alu instid0(VALU_DEP_2) | instskip(NEXT) | instid1(VALU_DEP_3)
	v_cmp_lt_u32_e64 s2, 31, v5
	v_mad_u64_u32 v[12:13], null, 0xf534ddc0, v2, v[8:9]
	s_delay_alu instid0(VALU_DEP_2) | instskip(NEXT) | instid1(VALU_DEP_1)
	v_cndmask_b32_e64 v16, 0, 0xffffffe0, s2
	v_dual_mov_b32 v8, v13 :: v_dual_add_nc_u32 v5, v16, v5
	s_delay_alu instid0(VALU_DEP_1) | instskip(NEXT) | instid1(VALU_DEP_2)
	v_cmp_lt_u32_e64 s3, 31, v5
	v_mad_u64_u32 v[13:14], null, 0xfc2757d1, v2, v[8:9]
	s_delay_alu instid0(VALU_DEP_1) | instskip(NEXT) | instid1(VALU_DEP_1)
	v_mov_b32_e32 v8, v14
	v_mad_u64_u32 v[14:15], null, 0x4e441529, v2, v[8:9]
	s_delay_alu instid0(VALU_DEP_1) | instskip(NEXT) | instid1(VALU_DEP_1)
	v_mov_b32_e32 v8, v15
	v_mad_u64_u32 v[15:16], null, 0xa2f9836e, v2, v[8:9]
	v_cndmask_b32_e64 v2, 0, 0xffffffe0, s3
	s_delay_alu instid0(VALU_DEP_4) | instskip(NEXT) | instid1(VALU_DEP_2)
	v_cndmask_b32_e32 v8, v14, v12, vcc_lo
	v_dual_cndmask_b32 v5, v12, v10 :: v_dual_add_nc_u32 v2, v2, v5
	s_delay_alu instid0(VALU_DEP_4) | instskip(SKIP_1) | instid1(VALU_DEP_3)
	v_dual_cndmask_b32 v9, v15, v13 :: v_dual_cndmask_b32 v14, v16, v14
	v_cndmask_b32_e32 v13, v13, v11, vcc_lo
	v_sub_nc_u32_e32 v12, 32, v2
	v_cmp_eq_u32_e64 s4, 0, v2
	s_delay_alu instid0(VALU_DEP_4) | instskip(SKIP_4) | instid1(VALU_DEP_4)
	v_cndmask_b32_e64 v10, v9, v8, s2
	v_cndmask_b32_e64 v9, v14, v9, s2
	;; [unrolled: 1-line block ×6, first 2 shown]
	s_delay_alu instid0(VALU_DEP_4) | instskip(NEXT) | instid1(VALU_DEP_4)
	v_cndmask_b32_e64 v10, v10, v8, s3
	v_cndmask_b32_e64 v8, v8, v13, s3
	s_delay_alu instid0(VALU_DEP_4) | instskip(NEXT) | instid1(VALU_DEP_3)
	v_cndmask_b32_e64 v4, v13, v4, s3
	v_alignbit_b32 v14, v9, v10, v12
	s_delay_alu instid0(VALU_DEP_3) | instskip(NEXT) | instid1(VALU_DEP_3)
	v_alignbit_b32 v15, v10, v8, v12
	v_alignbit_b32 v12, v8, v4, v12
	s_delay_alu instid0(VALU_DEP_3) | instskip(NEXT) | instid1(VALU_DEP_3)
	v_cndmask_b32_e64 v2, v14, v9, s4
	v_cndmask_b32_e64 v9, v15, v10, s4
	s_delay_alu instid0(VALU_DEP_3) | instskip(NEXT) | instid1(VALU_DEP_3)
	v_cndmask_b32_e64 v8, v12, v8, s4
	v_bfe_u32 v10, v2, 29, 1
	s_delay_alu instid0(VALU_DEP_3) | instskip(NEXT) | instid1(VALU_DEP_3)
	v_alignbit_b32 v5, v2, v9, 30
	v_alignbit_b32 v9, v9, v8, 30
	v_alignbit_b32 v4, v8, v4, 30
	s_delay_alu instid0(VALU_DEP_4) | instskip(NEXT) | instid1(VALU_DEP_1)
	v_sub_nc_u32_e32 v11, 0, v10
	v_xor_b32_e32 v13, v5, v11
	v_cmp_ne_u32_e32 vcc_lo, v5, v11
	v_xor_b32_e32 v8, v9, v11
	v_xor_b32_e32 v4, v4, v11
	s_delay_alu instid0(VALU_DEP_4) | instskip(NEXT) | instid1(VALU_DEP_1)
	v_clz_i32_u32_e32 v14, v13
	v_add_nc_u32_e32 v12, 1, v14
	s_delay_alu instid0(VALU_DEP_1) | instskip(NEXT) | instid1(VALU_DEP_1)
	v_cndmask_b32_e32 v5, 33, v12, vcc_lo
	v_sub_nc_u32_e32 v9, 32, v5
	s_delay_alu instid0(VALU_DEP_1) | instskip(SKIP_2) | instid1(VALU_DEP_2)
	v_alignbit_b32 v11, v13, v8, v9
	v_alignbit_b32 v4, v8, v4, v9
	v_lshrrev_b32_e32 v8, 29, v2
	v_alignbit_b32 v9, v11, v4, 9
	s_delay_alu instid0(VALU_DEP_2) | instskip(SKIP_1) | instid1(VALU_DEP_3)
	v_lshlrev_b32_e32 v8, 31, v8
	v_alignbit_b32 v11, v5, v11, 9
	v_clz_i32_u32_e32 v12, v9
	s_delay_alu instid0(VALU_DEP_2) | instskip(SKIP_1) | instid1(VALU_DEP_3)
	v_or_b32_e32 v11, v11, v8
	v_or_b32_e32 v8, 0x33800000, v8
	v_min_u32_e32 v12, 32, v12
	s_delay_alu instid0(VALU_DEP_3) | instskip(NEXT) | instid1(VALU_DEP_2)
	v_xor_b32_e32 v11, 1.0, v11
	v_sub_nc_u32_e32 v13, 31, v12
	v_add_lshl_u32 v5, v12, v5, 23
	s_delay_alu instid0(VALU_DEP_3) | instskip(NEXT) | instid1(VALU_DEP_3)
	v_mul_f32_e32 v12, 0x3fc90fda, v11
	v_alignbit_b32 v4, v9, v4, v13
	s_delay_alu instid0(VALU_DEP_3) | instskip(NEXT) | instid1(VALU_DEP_3)
	v_sub_nc_u32_e32 v5, v8, v5
	v_fma_f32 v8, 0x3fc90fda, v11, -v12
	s_delay_alu instid0(VALU_DEP_3) | instskip(NEXT) | instid1(VALU_DEP_2)
	v_lshrrev_b32_e32 v4, 9, v4
	v_fmamk_f32 v8, v11, 0x33a22168, v8
	s_delay_alu instid0(VALU_DEP_2) | instskip(NEXT) | instid1(VALU_DEP_1)
	v_or_b32_e32 v4, v5, v4
	v_fmac_f32_e32 v8, 0x3fc90fda, v4
	v_lshrrev_b32_e32 v4, 30, v2
	s_delay_alu instid0(VALU_DEP_2) | instskip(NEXT) | instid1(VALU_DEP_2)
	v_add_f32_e32 v2, v12, v8
	v_add_nc_u32_e32 v4, v10, v4
.LBB1_3:
	s_or_saveexec_b32 s2, s5
	s_load_b64 s[6:7], s[0:1], 0x10
	s_xor_b32 exec_lo, exec_lo, s2
; %bb.4:
	v_mul_f32_e64 v2, 0x3f22f983, |v6|
	s_delay_alu instid0(VALU_DEP_1) | instskip(NEXT) | instid1(VALU_DEP_1)
	v_rndne_f32_e32 v4, v2
	v_fma_f32 v2, 0xbfc90fda, v4, |v6|
	s_delay_alu instid0(VALU_DEP_1) | instskip(NEXT) | instid1(VALU_DEP_1)
	v_fmamk_f32 v2, v4, 0xb3a22168, v2
	v_fmamk_f32 v2, v4, 0xa7c234c4, v2
	v_cvt_i32_f32_e32 v4, v4
; %bb.5:
	s_or_b32 exec_lo, exec_lo, s2
	s_delay_alu instid0(VALU_DEP_1) | instskip(SKIP_3) | instid1(VALU_DEP_1)
	v_dual_mul_f32 v5, v2, v2 :: v_dual_lshlrev_b32 v10, 30, v4
	s_mov_b32 s9, 0xb94c1982
	s_mov_b32 s10, 0x37d75334
	;; [unrolled: 1-line block ×3, first 2 shown]
	v_dual_fmaak_f32 v8, s9, v5, 0x3c0881c4 :: v_dual_add_f32 v3, -1.0, v3
	s_mov_b32 s13, 0x7fffff
	v_and_b32_e32 v4, 1, v4
	s_delay_alu instid0(VALU_DEP_2) | instskip(SKIP_2) | instid1(VALU_DEP_4)
	v_fmaak_f32 v8, v5, v8, 0xbe2aaa9d
	v_fmaak_f32 v9, s10, v5, 0xbab64f3b
	v_fma_f32 v3, 0x3e800000, v3, 1.0
	v_cmp_eq_u32_e32 vcc_lo, 0, v4
	s_delay_alu instid0(VALU_DEP_4) | instskip(NEXT) | instid1(VALU_DEP_1)
	v_mul_f32_e32 v8, v5, v8
	v_dual_fmaak_f32 v9, v5, v9, 0x3d2aabf7 :: v_dual_fmac_f32 v2, v2, v8
	s_delay_alu instid0(VALU_DEP_1) | instskip(NEXT) | instid1(VALU_DEP_1)
	v_fmaak_f32 v9, v5, v9, 0xbf000004
	v_fma_f32 v5, v5, v9, 1.0
	s_delay_alu instid0(VALU_DEP_1) | instskip(SKIP_2) | instid1(VALU_DEP_1)
	v_cndmask_b32_e32 v4, v5, v2, vcc_lo
	v_cmp_class_f32_e64 vcc_lo, v6, 0x1f8
	v_add_f32_e32 v2, -1.0, v3
	v_frexp_mant_f32_e64 v5, |v2|
	v_and_b32_e32 v10, 0x80000000, v10
	s_delay_alu instid0(VALU_DEP_2) | instskip(NEXT) | instid1(VALU_DEP_2)
	v_cmp_gt_f32_e64 s0, 0x3f2aaaab, v5
	v_xor_b32_e32 v8, v7, v10
	s_delay_alu instid0(VALU_DEP_1) | instskip(NEXT) | instid1(VALU_DEP_3)
	v_xor3_b32 v4, v8, v4, v6
	v_cndmask_b32_e64 v8, 1.0, 2.0, s0
	s_delay_alu instid0(VALU_DEP_2) | instskip(NEXT) | instid1(VALU_DEP_2)
	v_cndmask_b32_e32 v3, 0x7fc00000, v4, vcc_lo
	v_mul_f32_e32 v5, v5, v8
	v_cndmask_b32_e64 v4, 0x7fc00000, |v4|, vcc_lo
	v_cmp_class_f32_e64 s12, v2, 0x204
	s_delay_alu instid0(VALU_DEP_2) | instskip(NEXT) | instid1(VALU_DEP_1)
	v_frexp_mant_f32_e32 v9, v4
	v_cmp_gt_f32_e64 s1, 0x3f2aaaab, v9
	s_delay_alu instid0(VALU_DEP_1) | instskip(NEXT) | instid1(VALU_DEP_1)
	v_cndmask_b32_e64 v8, 1.0, 2.0, s1
	v_mul_f32_e32 v8, v9, v8
	s_delay_alu instid0(VALU_DEP_1) | instskip(NEXT) | instid1(VALU_DEP_1)
	v_dual_add_f32 v10, 1.0, v5 :: v_dual_add_f32 v15, -1.0, v8
	v_rcp_f32_e32 v9, v10
	v_dual_add_f32 v11, 1.0, v8 :: v_dual_add_f32 v16, -1.0, v10
	v_add_f32_e32 v12, -1.0, v5
	s_delay_alu instid0(VALU_DEP_2) | instskip(SKIP_2) | instid1(VALU_DEP_1)
	v_rcp_f32_e32 v13, v11
	s_waitcnt_depctr 0xfff
	v_dual_sub_f32 v5, v5, v16 :: v_dual_mul_f32 v14, v12, v9
	v_dual_mul_f32 v17, v10, v14 :: v_dual_add_f32 v16, -1.0, v11
	v_mul_f32_e32 v18, v15, v13
	s_delay_alu instid0(VALU_DEP_2) | instskip(NEXT) | instid1(VALU_DEP_1)
	v_fma_f32 v10, v14, v10, -v17
	v_dual_mul_f32 v19, v11, v18 :: v_dual_fmac_f32 v10, v14, v5
	s_delay_alu instid0(VALU_DEP_4) | instskip(NEXT) | instid1(VALU_DEP_2)
	v_sub_f32_e32 v5, v8, v16
	v_fma_f32 v8, v18, v11, -v19
	s_delay_alu instid0(VALU_DEP_1) | instskip(NEXT) | instid1(VALU_DEP_1)
	v_dual_add_f32 v11, v17, v10 :: v_dual_fmac_f32 v8, v18, v5
	v_sub_f32_e32 v5, v12, v11
	v_sub_f32_e32 v17, v11, v17
	s_delay_alu instid0(VALU_DEP_2) | instskip(NEXT) | instid1(VALU_DEP_1)
	v_sub_f32_e32 v12, v12, v5
	v_dual_sub_f32 v11, v12, v11 :: v_dual_sub_f32 v10, v17, v10
	s_delay_alu instid0(VALU_DEP_1) | instskip(NEXT) | instid1(VALU_DEP_1)
	v_add_f32_e32 v10, v10, v11
	v_dual_add_f32 v16, v19, v8 :: v_dual_add_f32 v5, v5, v10
	s_delay_alu instid0(VALU_DEP_1) | instskip(NEXT) | instid1(VALU_DEP_2)
	v_sub_f32_e32 v20, v15, v16
	v_dual_sub_f32 v12, v16, v19 :: v_dual_mul_f32 v5, v9, v5
	s_delay_alu instid0(VALU_DEP_2) | instskip(NEXT) | instid1(VALU_DEP_2)
	v_sub_f32_e32 v15, v15, v20
	v_sub_f32_e32 v8, v12, v8
	s_delay_alu instid0(VALU_DEP_2) | instskip(NEXT) | instid1(VALU_DEP_1)
	v_dual_add_f32 v12, v14, v5 :: v_dual_sub_f32 v11, v15, v16
	v_add_f32_e32 v8, v8, v11
	s_delay_alu instid0(VALU_DEP_2) | instskip(NEXT) | instid1(VALU_DEP_1)
	v_sub_f32_e32 v11, v12, v14
	v_dual_add_f32 v8, v20, v8 :: v_dual_sub_f32 v5, v5, v11
	s_delay_alu instid0(VALU_DEP_1) | instskip(SKIP_1) | instid1(VALU_DEP_2)
	v_mul_f32_e32 v10, v13, v8
	v_cvt_f64_f32_e64 v[8:9], |v2|
	v_dual_add_f32 v16, v5, v5 :: v_dual_add_f32 v13, v18, v10
	s_delay_alu instid0(VALU_DEP_1) | instskip(SKIP_1) | instid1(VALU_DEP_2)
	v_dual_mul_f32 v17, v13, v13 :: v_dual_mul_f32 v14, v12, v12
	v_sub_f32_e32 v11, v13, v18
	v_fma_f32 v15, v12, v12, -v14
	s_delay_alu instid0(VALU_DEP_2) | instskip(SKIP_1) | instid1(VALU_DEP_3)
	v_sub_f32_e32 v18, v10, v11
	v_cvt_f64_f32_e32 v[10:11], v4
	v_fmac_f32_e32 v15, v12, v16
	v_fma_f32 v16, v13, v13, -v17
	s_delay_alu instid0(VALU_DEP_4) | instskip(NEXT) | instid1(VALU_DEP_3)
	v_add_f32_e32 v19, v18, v18
	v_add_f32_e32 v20, v14, v15
	s_delay_alu instid0(VALU_DEP_1) | instskip(SKIP_1) | instid1(VALU_DEP_2)
	v_sub_f32_e32 v14, v20, v14
	v_frexp_exp_i32_f64_e32 v8, v[8:9]
	v_dual_sub_f32 v9, v15, v14 :: v_dual_fmac_f32 v16, v13, v19
	v_fmaak_f32 v19, s11, v20, 0x3e91f4c4
	s_delay_alu instid0(VALU_DEP_1) | instskip(NEXT) | instid1(VALU_DEP_1)
	v_fmaak_f32 v19, v20, v19, 0x3ecccdef
	v_mul_f32_e32 v23, v20, v19
	v_frexp_exp_i32_f64_e32 v10, v[10:11]
	s_delay_alu instid0(VALU_DEP_2) | instskip(NEXT) | instid1(VALU_DEP_1)
	v_fma_f32 v14, v20, v19, -v23
	v_dual_fmac_f32 v14, v9, v19 :: v_dual_mul_f32 v19, v12, v20
	v_add_f32_e32 v21, v17, v16
	s_delay_alu instid0(VALU_DEP_1) | instskip(NEXT) | instid1(VALU_DEP_1)
	v_sub_f32_e32 v15, v21, v17
	v_dual_fmaak_f32 v22, s11, v21, 0x3e91f4c4 :: v_dual_sub_f32 v15, v16, v15
	s_delay_alu instid0(VALU_DEP_1) | instskip(SKIP_1) | instid1(VALU_DEP_2)
	v_fmaak_f32 v22, v21, v22, 0x3ecccdef
	v_subrev_co_ci_u32_e64 v8, s0, 0, v8, s0
	v_mul_f32_e32 v17, v21, v22
	s_delay_alu instid0(VALU_DEP_2) | instskip(NEXT) | instid1(VALU_DEP_2)
	v_cvt_f32_i32_e32 v8, v8
	v_fma_f32 v16, v21, v22, -v17
	s_delay_alu instid0(VALU_DEP_1) | instskip(SKIP_2) | instid1(VALU_DEP_2)
	v_fmac_f32_e32 v16, v15, v22
	v_fma_f32 v22, v20, v12, -v19
	v_subrev_co_ci_u32_e64 v10, s0, 0, v10, s1
	v_fmac_f32_e32 v22, v20, v5
	s_delay_alu instid0(VALU_DEP_4) | instskip(SKIP_1) | instid1(VALU_DEP_4)
	v_add_f32_e32 v26, v17, v16
	v_ldexp_f32 v5, v5, 1
	v_cvt_f32_i32_e32 v10, v10
	v_cmp_eq_f32_e64 s0, 1.0, v2
	s_delay_alu instid0(VALU_DEP_4) | instskip(SKIP_1) | instid1(VALU_DEP_1)
	v_dual_fmac_f32 v22, v9, v12 :: v_dual_sub_f32 v17, v26, v17
	v_add_f32_e32 v24, v23, v14
	v_sub_f32_e32 v23, v24, v23
	s_delay_alu instid0(VALU_DEP_1) | instskip(SKIP_2) | instid1(VALU_DEP_3)
	v_sub_f32_e32 v11, v14, v23
	v_add_f32_e32 v25, 0x3f2aaaaa, v24
	v_mul_f32_e32 v23, v13, v21
	v_add_f32_e32 v11, 0x31739010, v11
	v_add_f32_e32 v20, 0x3f2aaaaa, v26
	s_delay_alu instid0(VALU_DEP_4) | instskip(NEXT) | instid1(VALU_DEP_2)
	v_add_f32_e32 v14, 0xbf2aaaaa, v25
	v_dual_sub_f32 v16, v16, v17 :: v_dual_add_f32 v17, 0xbf2aaaaa, v20
	s_delay_alu instid0(VALU_DEP_2) | instskip(SKIP_1) | instid1(VALU_DEP_2)
	v_sub_f32_e32 v14, v24, v14
	v_fma_f32 v24, v21, v13, -v23
	v_add_f32_e32 v9, v11, v14
	s_delay_alu instid0(VALU_DEP_2) | instskip(SKIP_1) | instid1(VALU_DEP_2)
	v_dual_add_f32 v11, 0x31739010, v16 :: v_dual_fmac_f32 v24, v21, v18
	v_ldexp_f32 v18, v18, 1
	v_fmac_f32_e32 v24, v15, v13
	s_delay_alu instid0(VALU_DEP_4) | instskip(SKIP_1) | instid1(VALU_DEP_3)
	v_add_f32_e32 v16, v25, v9
	v_ldexp_f32 v13, v13, 1
	v_dual_add_f32 v21, v23, v24 :: v_dual_sub_f32 v14, v26, v17
	s_delay_alu instid0(VALU_DEP_3) | instskip(NEXT) | instid1(VALU_DEP_2)
	v_sub_f32_e32 v15, v25, v16
	v_add_f32_e32 v11, v11, v14
	s_delay_alu instid0(VALU_DEP_2) | instskip(NEXT) | instid1(VALU_DEP_2)
	v_dual_add_f32 v14, v19, v22 :: v_dual_add_f32 v9, v9, v15
	v_add_f32_e32 v17, v20, v11
	s_delay_alu instid0(VALU_DEP_2) | instskip(SKIP_1) | instid1(VALU_DEP_3)
	v_mul_f32_e32 v25, v14, v16
	v_sub_f32_e32 v19, v14, v19
	v_sub_f32_e32 v15, v20, v17
	v_mul_f32_e32 v20, v21, v17
	s_delay_alu instid0(VALU_DEP_4) | instskip(NEXT) | instid1(VALU_DEP_4)
	v_fma_f32 v26, v14, v16, -v25
	v_sub_f32_e32 v19, v22, v19
	v_sub_f32_e32 v22, v21, v23
	v_add_f32_e32 v11, v11, v15
	v_fma_f32 v15, v21, v17, -v20
	v_fmac_f32_e32 v26, v14, v9
	s_delay_alu instid0(VALU_DEP_2) | instskip(NEXT) | instid1(VALU_DEP_2)
	v_dual_sub_f32 v14, v24, v22 :: v_dual_fmac_f32 v15, v21, v11
	v_fmac_f32_e32 v26, v19, v16
	v_mul_f32_e32 v9, 0x3f317218, v8
	v_ldexp_f32 v11, v12, 1
	s_delay_alu instid0(VALU_DEP_3) | instskip(NEXT) | instid1(VALU_DEP_3)
	v_dual_fmac_f32 v15, v14, v17 :: v_dual_add_f32 v14, v25, v26
	v_fma_f32 v12, 0x3f317218, v8, -v9
	s_delay_alu instid0(VALU_DEP_2) | instskip(NEXT) | instid1(VALU_DEP_2)
	v_dual_add_f32 v16, v20, v15 :: v_dual_add_f32 v17, v11, v14
	v_dual_sub_f32 v19, v14, v25 :: v_dual_fmac_f32 v12, 0xb102e308, v8
	s_delay_alu instid0(VALU_DEP_2) | instskip(SKIP_1) | instid1(VALU_DEP_4)
	v_sub_f32_e32 v20, v16, v20
	v_add_f32_e32 v22, v13, v16
	v_sub_f32_e32 v11, v17, v11
	s_delay_alu instid0(VALU_DEP_3) | instskip(NEXT) | instid1(VALU_DEP_3)
	v_sub_f32_e32 v15, v15, v20
	v_sub_f32_e32 v13, v22, v13
	s_delay_alu instid0(VALU_DEP_3) | instskip(NEXT) | instid1(VALU_DEP_3)
	v_sub_f32_e32 v11, v14, v11
	v_add_f32_e32 v15, v18, v15
	s_delay_alu instid0(VALU_DEP_3) | instskip(NEXT) | instid1(VALU_DEP_1)
	v_sub_f32_e32 v13, v16, v13
	v_dual_mul_f32 v21, 0x3f317218, v10 :: v_dual_add_f32 v8, v15, v13
	s_delay_alu instid0(VALU_DEP_1) | instskip(SKIP_1) | instid1(VALU_DEP_2)
	v_fma_f32 v14, 0x3f317218, v10, -v21
	v_sub_f32_e32 v19, v26, v19
	v_dual_add_f32 v15, v22, v8 :: v_dual_fmac_f32 v14, 0xb102e308, v10
	s_delay_alu instid0(VALU_DEP_2) | instskip(SKIP_1) | instid1(VALU_DEP_3)
	v_add_f32_e32 v5, v5, v19
	v_add_f32_e32 v10, v9, v12
	;; [unrolled: 1-line block ×3, first 2 shown]
	s_delay_alu instid0(VALU_DEP_1) | instskip(NEXT) | instid1(VALU_DEP_4)
	v_dual_sub_f32 v9, v10, v9 :: v_dual_add_f32 v18, v13, v15
	v_add_f32_e32 v5, v5, v11
	v_sub_f32_e32 v19, v13, v21
	s_delay_alu instid0(VALU_DEP_3) | instskip(NEXT) | instid1(VALU_DEP_2)
	v_sub_f32_e32 v9, v12, v9
	v_dual_add_f32 v11, v17, v5 :: v_dual_sub_f32 v14, v14, v19
	s_delay_alu instid0(VALU_DEP_1) | instskip(NEXT) | instid1(VALU_DEP_1)
	v_add_f32_e32 v16, v10, v11
	v_sub_f32_e32 v20, v16, v10
	s_delay_alu instid0(VALU_DEP_1) | instskip(NEXT) | instid1(VALU_DEP_1)
	v_sub_f32_e32 v19, v16, v20
	v_sub_f32_e32 v10, v10, v19
	;; [unrolled: 1-line block ×4, first 2 shown]
	s_delay_alu instid0(VALU_DEP_1) | instskip(SKIP_1) | instid1(VALU_DEP_1)
	v_dual_sub_f32 v5, v5, v12 :: v_dual_add_f32 v10, v11, v10
	v_sub_f32_e32 v17, v18, v13
	v_dual_sub_f32 v21, v15, v22 :: v_dual_sub_f32 v12, v18, v17
	s_delay_alu instid0(VALU_DEP_1) | instskip(NEXT) | instid1(VALU_DEP_2)
	v_sub_f32_e32 v8, v8, v21
	v_sub_f32_e32 v12, v13, v12
	v_add_f32_e32 v13, v9, v5
	s_delay_alu instid0(VALU_DEP_1) | instskip(SKIP_1) | instid1(VALU_DEP_2)
	v_dual_add_f32 v11, v14, v8 :: v_dual_add_f32 v10, v13, v10
	v_sub_f32_e32 v15, v15, v17
	v_sub_f32_e32 v17, v11, v14
	s_delay_alu instid0(VALU_DEP_2) | instskip(SKIP_1) | instid1(VALU_DEP_3)
	v_dual_add_f32 v19, v16, v10 :: v_dual_add_f32 v12, v15, v12
	v_sub_f32_e32 v15, v13, v9
	v_sub_f32_e32 v8, v8, v17
	s_delay_alu instid0(VALU_DEP_3) | instskip(SKIP_1) | instid1(VALU_DEP_4)
	v_add_f32_e32 v12, v11, v12
	v_sub_f32_e32 v11, v11, v17
	v_sub_f32_e32 v13, v13, v15
	s_delay_alu instid0(VALU_DEP_2) | instskip(NEXT) | instid1(VALU_DEP_2)
	v_sub_f32_e32 v11, v14, v11
	v_sub_f32_e32 v9, v9, v13
	s_delay_alu instid0(VALU_DEP_2) | instskip(SKIP_2) | instid1(VALU_DEP_1)
	v_dual_sub_f32 v13, v19, v16 :: v_dual_add_f32 v8, v8, v11
	v_sub_f32_e32 v5, v5, v15
	v_add_f32_e32 v15, v18, v12
	v_dual_add_f32 v5, v5, v9 :: v_dual_sub_f32 v14, v15, v18
	s_delay_alu instid0(VALU_DEP_1) | instskip(NEXT) | instid1(VALU_DEP_1)
	v_dual_sub_f32 v9, v10, v13 :: v_dual_sub_f32 v10, v12, v14
	v_dual_add_f32 v5, v5, v9 :: v_dual_add_f32 v8, v8, v10
	s_delay_alu instid0(VALU_DEP_1) | instskip(SKIP_2) | instid1(VALU_DEP_4)
	v_add_f32_e32 v9, v19, v5
	v_cndmask_b32_e64 v10, 2.0, 1.0, s0
	v_cmp_eq_f32_e64 s0, 1.0, v3
	v_add_f32_e32 v11, v15, v8
	s_delay_alu instid0(VALU_DEP_3) | instskip(NEXT) | instid1(VALU_DEP_3)
	v_dual_sub_f32 v13, v9, v19 :: v_dual_mul_f32 v14, v10, v9
	v_cndmask_b32_e64 v12, 2.0, 1.0, s0
	v_trunc_f32_e32 v25, v10
	s_delay_alu instid0(VALU_DEP_4) | instskip(NEXT) | instid1(VALU_DEP_4)
	v_sub_f32_e32 v15, v11, v15
	v_sub_f32_e32 v5, v5, v13
	v_fma_f32 v9, v10, v9, -v14
	v_mul_f32_e32 v16, v12, v11
	v_cmp_class_f32_e64 s0, v14, 0x204
	v_dual_sub_f32 v8, v8, v15 :: v_dual_mul_f32 v23, 0.5, v10
	s_delay_alu instid0(VALU_DEP_4) | instskip(NEXT) | instid1(VALU_DEP_4)
	v_fmac_f32_e32 v9, v10, v5
	v_fma_f32 v11, v12, v11, -v16
	v_cmp_eq_f32_e64 s1, v25, v10
	s_delay_alu instid0(VALU_DEP_4) | instskip(NEXT) | instid1(VALU_DEP_4)
	v_trunc_f32_e32 v28, v23
	v_add_f32_e32 v5, v14, v9
	s_delay_alu instid0(VALU_DEP_4) | instskip(NEXT) | instid1(VALU_DEP_3)
	v_fmac_f32_e32 v11, v12, v8
	v_cmp_neq_f32_e64 s2, v28, v23
	s_delay_alu instid0(VALU_DEP_3) | instskip(NEXT) | instid1(VALU_DEP_3)
	v_cndmask_b32_e64 v13, v5, v14, s0
	v_add_f32_e32 v8, v16, v11
	v_cmp_class_f32_e64 s0, v16, 0x204
	v_sub_f32_e32 v5, v5, v14
	v_trunc_f32_e32 v14, v12
	v_cmp_neq_f32_e64 s4, 0x7f800000, |v13|
	v_mul_f32_e32 v23, 0.5, v12
	v_cndmask_b32_e64 v15, v8, v16, s0
	v_cmp_eq_f32_e64 s0, 0x42b17218, v13
	v_dual_sub_f32 v5, v9, v5 :: v_dual_sub_f32 v8, v8, v16
	v_cmp_eq_f32_e64 s3, v14, v12
	s_and_b32 s2, s1, s2
	s_delay_alu instid0(VALU_DEP_3)
	v_cndmask_b32_e64 v17, 0, 0x37000000, s0
	v_cmp_eq_f32_e64 s0, 0x42b17218, v15
	v_cndmask_b32_e64 v5, 0, v5, s4
	v_sub_f32_e32 v8, v11, v8
	v_cndmask_b32_e64 v11, 1.0, v2, s2
	v_sub_f32_e32 v19, v13, v17
	v_cndmask_b32_e64 v18, 0, 0x37000000, s0
	v_add_f32_e32 v5, v17, v5
	v_trunc_f32_e32 v13, v23
	v_cmp_eq_f32_e64 s0, 0, v2
	s_delay_alu instid0(VALU_DEP_4) | instskip(SKIP_1) | instid1(VALU_DEP_3)
	v_dual_mul_f32 v21, 0x3fb8aa3b, v19 :: v_dual_sub_f32 v20, v15, v18
	v_cmp_ngt_f32_e64 s4, 0xc2ce8ed0, v19
	v_cndmask_b32_e64 v22, 0x7f800000, 0, s0
	s_delay_alu instid0(VALU_DEP_3) | instskip(NEXT) | instid1(VALU_DEP_4)
	v_fma_f32 v26, 0x3fb8aa3b, v19, -v21
	v_mul_f32_e32 v24, 0x3fb8aa3b, v20
	v_rndne_f32_e32 v27, v21
	s_or_b32 s0, s0, s12
	s_mov_b32 s12, 0
	v_fmac_f32_e32 v26, 0x32a5705f, v19
	v_fma_f32 v29, 0x3fb8aa3b, v20, -v24
	v_rndne_f32_e32 v30, v24
	v_sub_f32_e32 v21, v21, v27
	s_delay_alu instid0(VALU_DEP_2) | instskip(NEXT) | instid1(VALU_DEP_2)
	v_dual_fmac_f32 v29, 0x32a5705f, v20 :: v_dual_sub_f32 v10, v24, v30
	v_add_f32_e32 v21, v21, v26
	v_cvt_i32_f32_e32 v12, v30
	s_delay_alu instid0(VALU_DEP_3) | instskip(NEXT) | instid1(VALU_DEP_3)
	v_add_f32_e32 v10, v10, v29
	v_exp_f32_e32 v21, v21
	s_delay_alu instid0(VALU_DEP_1) | instskip(SKIP_4) | instid1(VALU_DEP_2)
	v_exp_f32_e32 v9, v10
	v_cvt_i32_f32_e32 v10, v27
	s_waitcnt_depctr 0xfff
	v_ldexp_f32 v10, v21, v10
	v_ldexp_f32 v9, v9, v12
	v_cndmask_b32_e64 v10, 0, v10, s4
	v_cmp_neq_f32_e64 s4, 0x7f800000, |v15|
	s_delay_alu instid0(VALU_DEP_1) | instskip(SKIP_1) | instid1(VALU_DEP_2)
	v_cndmask_b32_e64 v8, 0, v8, s4
	v_cmp_ngt_f32_e64 s4, 0xc2ce8ed0, v20
	v_add_f32_e32 v8, v18, v8
	s_delay_alu instid0(VALU_DEP_2) | instskip(SKIP_1) | instid1(VALU_DEP_1)
	v_cndmask_b32_e64 v9, 0, v9, s4
	v_cmp_nlt_f32_e64 s4, 0x42b17218, v19
	v_cndmask_b32_e64 v10, 0x7f800000, v10, s4
	v_cmp_nlt_f32_e64 s4, 0x42b17218, v20
	s_delay_alu instid0(VALU_DEP_2) | instskip(NEXT) | instid1(VALU_DEP_2)
	v_fma_f32 v5, v10, v5, v10
	v_cndmask_b32_e64 v9, 0x7f800000, v9, s4
	v_cmp_class_f32_e64 s5, v10, 0x204
	v_cmp_neq_f32_e64 s4, v13, v23
	s_delay_alu instid0(VALU_DEP_3) | instskip(NEXT) | instid1(VALU_DEP_3)
	v_fma_f32 v8, v9, v8, v9
	v_cndmask_b32_e64 v5, v5, v10, s5
	v_cmp_class_f32_e64 s5, v9, 0x204
	s_delay_alu instid0(VALU_DEP_4) | instskip(NEXT) | instid1(SALU_CYCLE_1)
	s_and_b32 s4, s3, s4
	v_cndmask_b32_e64 v10, 1.0, v3, s4
	s_delay_alu instid0(VALU_DEP_3) | instskip(NEXT) | instid1(VALU_DEP_3)
	v_bfi_b32 v5, 0x7fffffff, v5, v11
	v_cndmask_b32_e64 v8, v8, v9, s5
	v_cndmask_b32_e64 v9, 0, v2, s2
	v_cmp_eq_f32_e64 s2, 0, v3
	s_delay_alu instid0(VALU_DEP_3)
	v_bfi_b32 v8, 0x7fffffff, v8, v10
	v_cndmask_b32_e64 v10, 0, v3, s4
	v_cmp_eq_f32_e64 s4, 0x7f800000, v4
	v_cndmask_b32_e64 v4, 0x7fc00000, v5, s1
	v_cmp_gt_f32_e64 s1, 0, v2
	v_cndmask_b32_e64 v11, 0x7f800000, 0, s2
	v_cndmask_b32_e64 v12, 0x7fc00000, v8, s3
	v_bfi_b32 v9, 0x7fffffff, v22, v9
	s_delay_alu instid0(VALU_DEP_4) | instskip(SKIP_2) | instid1(VALU_DEP_3)
	v_cndmask_b32_e64 v4, v5, v4, s1
	v_cmp_gt_f32_e64 s1, 0, v3
	v_bfi_b32 v10, 0x7fffffff, v11, v10
	v_cndmask_b32_e64 v4, v4, v9, s0
	s_delay_alu instid0(VALU_DEP_3)
	v_cndmask_b32_e64 v5, v8, v12, s1
	s_or_b32 s0, s2, s4
	s_delay_alu instid0(VALU_DEP_1) | instid1(SALU_CYCLE_1)
	v_cndmask_b32_e64 v5, v5, v10, s0
	v_cmp_o_f32_e64 s0, v2, v2
	s_delay_alu instid0(VALU_DEP_1) | instskip(SKIP_2) | instid1(VALU_DEP_2)
	v_cndmask_b32_e64 v8, 0x7fc00000, v4, s0
	v_cmp_o_f32_e64 s0, v3, v3
	v_mov_b32_e32 v3, 0
	v_cndmask_b32_e64 v2, 0x7fc00000, v5, s0
	s_delay_alu instid0(VALU_DEP_1)
	v_add_f32_e32 v9, v8, v2
	s_branch .LBB1_7
.LBB1_6:                                ;   in Loop: Header=BB1_7 Depth=1
	s_or_b32 exec_lo, exec_lo, s0
	s_delay_alu instid0(VALU_DEP_1) | instskip(SKIP_3) | instid1(VALU_DEP_3)
	v_dual_mul_f32 v12, v2, v2 :: v_dual_and_b32 v15, 1, v11
	v_xor_b32_e32 v10, v10, v5
	s_add_i32 s12, s12, 4
	v_add_f32_e32 v4, -1.0, v4
	v_fmaak_f32 v13, s9, v12, 0x3c0881c4
	v_cmp_eq_u32_e64 s0, 0, v15
	v_lshlrev_b32_e32 v11, 30, v11
	s_delay_alu instid0(VALU_DEP_4) | instskip(NEXT) | instid1(VALU_DEP_4)
	v_fma_f32 v4, 0x3e800000, v4, 1.0
	v_fmaak_f32 v13, v12, v13, 0xbe2aaa9d
	v_fmaak_f32 v14, s10, v12, 0xbab64f3b
	s_delay_alu instid0(VALU_DEP_4) | instskip(NEXT) | instid1(VALU_DEP_3)
	v_and_b32_e32 v11, 0x80000000, v11
	v_mul_f32_e32 v13, v12, v13
	s_delay_alu instid0(VALU_DEP_3) | instskip(NEXT) | instid1(VALU_DEP_2)
	v_fmaak_f32 v14, v12, v14, 0x3d2aabf7
	v_fmac_f32_e32 v2, v2, v13
	s_delay_alu instid0(VALU_DEP_2) | instskip(NEXT) | instid1(VALU_DEP_1)
	v_fmaak_f32 v14, v12, v14, 0xbf000004
	v_fma_f32 v12, v12, v14, 1.0
	s_delay_alu instid0(VALU_DEP_1) | instskip(SKIP_1) | instid1(VALU_DEP_2)
	v_cndmask_b32_e64 v2, v12, v2, s0
	v_cmp_class_f32_e64 s0, v5, 0x1f8
	v_xor3_b32 v10, v10, v11, v2
	s_delay_alu instid0(VALU_DEP_1) | instskip(SKIP_1) | instid1(VALU_DEP_2)
	v_cndmask_b32_e64 v5, 0x7fc00000, |v10|, s0
	v_cndmask_b32_e64 v2, 0x7fc00000, v10, s0
	v_frexp_mant_f32_e32 v11, v5
	s_delay_alu instid0(VALU_DEP_1) | instskip(NEXT) | instid1(VALU_DEP_1)
	v_cmp_gt_f32_e64 s1, 0x3f2aaaab, v11
	v_cndmask_b32_e64 v13, 1.0, 2.0, s1
	s_delay_alu instid0(VALU_DEP_1) | instskip(NEXT) | instid1(VALU_DEP_1)
	v_dual_mul_f32 v11, v11, v13 :: v_dual_add_f32 v4, -1.0, v4
	v_add_f32_e32 v13, 1.0, v11
	s_delay_alu instid0(VALU_DEP_2) | instskip(SKIP_2) | instid1(VALU_DEP_4)
	v_frexp_mant_f32_e64 v10, |v4|
	v_cmp_class_f32_e64 s14, v4, 0x204
	v_add_f32_e32 v17, -1.0, v11
	v_rcp_f32_e32 v15, v13
	s_delay_alu instid0(VALU_DEP_3) | instskip(NEXT) | instid1(VALU_DEP_1)
	v_cmp_gt_f32_e64 s0, 0x3f2aaaab, v10
	v_cndmask_b32_e64 v12, 1.0, 2.0, s0
	s_waitcnt_depctr 0xfff
	v_dual_mul_f32 v19, v17, v15 :: v_dual_mul_f32 v10, v10, v12
	s_delay_alu instid0(VALU_DEP_1) | instskip(NEXT) | instid1(VALU_DEP_2)
	v_dual_add_f32 v22, -1.0, v13 :: v_dual_mul_f32 v23, v13, v19
	v_add_f32_e32 v12, 1.0, v10
	v_add_f32_e32 v16, -1.0, v10
	s_delay_alu instid0(VALU_DEP_3) | instskip(NEXT) | instid1(VALU_DEP_4)
	v_sub_f32_e32 v11, v11, v22
	v_fma_f32 v13, v19, v13, -v23
	s_delay_alu instid0(VALU_DEP_4) | instskip(NEXT) | instid1(VALU_DEP_1)
	v_rcp_f32_e32 v14, v12
	v_fmac_f32_e32 v13, v19, v11
	s_waitcnt_depctr 0xfff
	v_dual_add_f32 v11, v23, v13 :: v_dual_mul_f32 v18, v16, v14
	s_delay_alu instid0(VALU_DEP_1) | instskip(NEXT) | instid1(VALU_DEP_1)
	v_dual_add_f32 v20, -1.0, v12 :: v_dual_sub_f32 v23, v11, v23
	v_dual_mul_f32 v21, v12, v18 :: v_dual_sub_f32 v10, v10, v20
	s_delay_alu instid0(VALU_DEP_2) | instskip(NEXT) | instid1(VALU_DEP_2)
	v_dual_sub_f32 v22, v17, v11 :: v_dual_sub_f32 v13, v23, v13
	v_fma_f32 v12, v18, v12, -v21
	s_delay_alu instid0(VALU_DEP_2) | instskip(NEXT) | instid1(VALU_DEP_1)
	v_sub_f32_e32 v17, v17, v22
	v_dual_fmac_f32 v12, v18, v10 :: v_dual_sub_f32 v11, v17, v11
	s_delay_alu instid0(VALU_DEP_1) | instskip(NEXT) | instid1(VALU_DEP_1)
	v_add_f32_e32 v10, v21, v12
	v_dual_sub_f32 v20, v16, v10 :: v_dual_sub_f32 v21, v10, v21
	s_delay_alu instid0(VALU_DEP_1) | instskip(NEXT) | instid1(VALU_DEP_1)
	v_dual_add_f32 v11, v13, v11 :: v_dual_sub_f32 v16, v16, v20
	v_dual_sub_f32 v12, v21, v12 :: v_dual_add_f32 v11, v22, v11
	s_delay_alu instid0(VALU_DEP_1) | instskip(NEXT) | instid1(VALU_DEP_1)
	v_dual_sub_f32 v10, v16, v10 :: v_dual_mul_f32 v13, v15, v11
	v_dual_add_f32 v10, v12, v10 :: v_dual_add_f32 v15, v19, v13
	s_delay_alu instid0(VALU_DEP_1) | instskip(NEXT) | instid1(VALU_DEP_1)
	v_dual_add_f32 v10, v20, v10 :: v_dual_sub_f32 v17, v15, v19
	v_dual_mul_f32 v19, v15, v15 :: v_dual_mul_f32 v12, v14, v10
	v_cvt_f64_f32_e64 v[10:11], |v4|
	s_delay_alu instid0(VALU_DEP_3) | instskip(NEXT) | instid1(VALU_DEP_3)
	v_sub_f32_e32 v17, v13, v17
	v_fma_f32 v22, v15, v15, -v19
	s_delay_alu instid0(VALU_DEP_2) | instskip(NEXT) | instid1(VALU_DEP_1)
	v_dual_add_f32 v14, v18, v12 :: v_dual_add_f32 v23, v17, v17
	v_sub_f32_e32 v16, v14, v18
	v_mul_f32_e32 v18, v14, v14
	s_delay_alu instid0(VALU_DEP_3) | instskip(NEXT) | instid1(VALU_DEP_3)
	v_fmac_f32_e32 v22, v15, v23
	v_sub_f32_e32 v16, v12, v16
	s_delay_alu instid0(VALU_DEP_3) | instskip(SKIP_1) | instid1(VALU_DEP_4)
	v_fma_f32 v20, v14, v14, -v18
	v_cvt_f64_f32_e32 v[12:13], v5
	v_add_f32_e32 v23, v19, v22
	s_delay_alu instid0(VALU_DEP_4) | instskip(NEXT) | instid1(VALU_DEP_2)
	v_add_f32_e32 v21, v16, v16
	v_fmaak_f32 v25, s11, v23, 0x3e91f4c4
	s_delay_alu instid0(VALU_DEP_2) | instskip(NEXT) | instid1(VALU_DEP_2)
	v_dual_sub_f32 v19, v23, v19 :: v_dual_fmac_f32 v20, v14, v21
	v_fmaak_f32 v25, v23, v25, 0x3ecccdef
	s_delay_alu instid0(VALU_DEP_2) | instskip(NEXT) | instid1(VALU_DEP_3)
	v_sub_f32_e32 v19, v22, v19
	v_add_f32_e32 v21, v18, v20
	s_delay_alu instid0(VALU_DEP_1) | instskip(SKIP_1) | instid1(VALU_DEP_2)
	v_dual_mul_f32 v27, v23, v25 :: v_dual_sub_f32 v18, v21, v18
	v_frexp_exp_i32_f64_e32 v10, v[10:11]
	v_sub_f32_e32 v11, v20, v18
	s_delay_alu instid0(VALU_DEP_3) | instskip(NEXT) | instid1(VALU_DEP_1)
	v_fma_f32 v20, v23, v25, -v27
	v_fmac_f32_e32 v20, v19, v25
	v_fmaak_f32 v24, s11, v21, 0x3e91f4c4
	v_mul_f32_e32 v22, v14, v21
	s_delay_alu instid0(VALU_DEP_2) | instskip(SKIP_1) | instid1(VALU_DEP_2)
	v_fmaak_f32 v24, v21, v24, 0x3ecccdef
	v_frexp_exp_i32_f64_e32 v12, v[12:13]
	v_mul_f32_e32 v26, v21, v24
	s_delay_alu instid0(VALU_DEP_1) | instskip(NEXT) | instid1(VALU_DEP_1)
	v_fma_f32 v18, v21, v24, -v26
	v_fmac_f32_e32 v18, v11, v24
	v_fma_f32 v24, v21, v14, -v22
	s_delay_alu instid0(VALU_DEP_1) | instskip(SKIP_3) | instid1(VALU_DEP_4)
	v_dual_add_f32 v25, v26, v18 :: v_dual_fmac_f32 v24, v21, v16
	v_mul_f32_e32 v21, v15, v23
	v_add_f32_e32 v13, v27, v20
	v_ldexp_f32 v16, v16, 1
	v_sub_f32_e32 v26, v25, v26
	v_add_f32_e32 v28, 0x3f2aaaaa, v25
	v_fma_f32 v30, v23, v15, -v21
	v_sub_f32_e32 v27, v13, v27
	v_subrev_co_ci_u32_e64 v10, s0, 0, v10, s0
	v_dual_sub_f32 v18, v18, v26 :: v_dual_add_f32 v29, 0x3f2aaaaa, v13
	s_delay_alu instid0(VALU_DEP_3) | instskip(SKIP_1) | instid1(VALU_DEP_4)
	v_sub_f32_e32 v20, v20, v27
	v_add_f32_e32 v26, 0xbf2aaaaa, v28
	v_cvt_f32_i32_e32 v10, v10
	s_delay_alu instid0(VALU_DEP_4) | instskip(NEXT) | instid1(VALU_DEP_3)
	v_add_f32_e32 v27, 0xbf2aaaaa, v29
	v_dual_fmac_f32 v30, v23, v17 :: v_dual_sub_f32 v23, v25, v26
	v_add_f32_e32 v18, 0x31739010, v18
	v_ldexp_f32 v17, v17, 1
	s_delay_alu instid0(VALU_DEP_4) | instskip(NEXT) | instid1(VALU_DEP_3)
	v_dual_sub_f32 v13, v13, v27 :: v_dual_add_f32 v20, 0x31739010, v20
	v_dual_fmac_f32 v24, v11, v14 :: v_dual_add_f32 v11, v18, v23
	s_delay_alu instid0(VALU_DEP_2) | instskip(NEXT) | instid1(VALU_DEP_1)
	v_dual_add_f32 v13, v20, v13 :: v_dual_fmac_f32 v30, v19, v15
	v_dual_add_f32 v23, v29, v13 :: v_dual_add_f32 v18, v22, v24
	s_delay_alu instid0(VALU_DEP_2) | instskip(NEXT) | instid1(VALU_DEP_1)
	v_dual_add_f32 v19, v21, v30 :: v_dual_add_f32 v20, v28, v11
	v_dual_sub_f32 v21, v19, v21 :: v_dual_sub_f32 v22, v18, v22
	s_delay_alu instid0(VALU_DEP_2) | instskip(SKIP_1) | instid1(VALU_DEP_3)
	v_dual_sub_f32 v25, v28, v20 :: v_dual_sub_f32 v26, v29, v23
	v_dual_mul_f32 v27, v19, v23 :: v_dual_mul_f32 v28, v18, v20
	v_dual_sub_f32 v22, v24, v22 :: v_dual_sub_f32 v21, v30, v21
	s_delay_alu instid0(VALU_DEP_3) | instskip(NEXT) | instid1(VALU_DEP_4)
	v_add_f32_e32 v11, v11, v25
	v_add_f32_e32 v13, v13, v26
	s_delay_alu instid0(VALU_DEP_4) | instskip(SKIP_1) | instid1(VALU_DEP_1)
	v_fma_f32 v25, v19, v23, -v27
	v_fma_f32 v26, v18, v20, -v28
	v_dual_fmac_f32 v26, v18, v11 :: v_dual_fmac_f32 v25, v19, v13
	v_subrev_co_ci_u32_e64 v11, s0, 0, v12, s1
	v_mul_f32_e32 v12, 0x3f317218, v10
	s_delay_alu instid0(VALU_DEP_3) | instskip(NEXT) | instid1(VALU_DEP_3)
	v_dual_fmac_f32 v26, v22, v20 :: v_dual_fmac_f32 v25, v21, v23
	v_cvt_f32_i32_e32 v11, v11
	v_ldexp_f32 v13, v14, 1
	v_ldexp_f32 v14, v15, 1
	v_fma_f32 v18, 0x3f317218, v10, -v12
	s_delay_alu instid0(VALU_DEP_4) | instskip(SKIP_2) | instid1(VALU_DEP_3)
	v_dual_add_f32 v15, v27, v25 :: v_dual_mul_f32 v20, 0x3f317218, v11
	v_add_f32_e32 v19, v28, v26
	v_cmp_eq_f32_e64 s0, 1.0, v2
	v_sub_f32_e32 v22, v15, v27
	s_delay_alu instid0(VALU_DEP_3) | instskip(NEXT) | instid1(VALU_DEP_1)
	v_dual_add_f32 v21, v14, v15 :: v_dual_sub_f32 v24, v19, v28
	v_dual_add_f32 v23, v13, v19 :: v_dual_sub_f32 v24, v26, v24
	s_delay_alu instid0(VALU_DEP_1) | instskip(NEXT) | instid1(VALU_DEP_4)
	v_dual_sub_f32 v14, v21, v14 :: v_dual_sub_f32 v13, v23, v13
	v_sub_f32_e32 v22, v25, v22
	v_fma_f32 v25, 0x3f317218, v11, -v20
	s_delay_alu instid0(VALU_DEP_4) | instskip(NEXT) | instid1(VALU_DEP_4)
	v_add_f32_e32 v16, v16, v24
	v_sub_f32_e32 v14, v15, v14
	v_sub_f32_e32 v13, v19, v13
	v_add_f32_e32 v15, v17, v22
	v_dual_fmac_f32 v18, 0xb102e308, v10 :: v_dual_fmac_f32 v25, 0xb102e308, v11
	s_delay_alu instid0(VALU_DEP_2) | instskip(NEXT) | instid1(VALU_DEP_2)
	v_dual_add_f32 v11, v16, v13 :: v_dual_add_f32 v10, v15, v14
	v_add_f32_e32 v13, v12, v18
	s_delay_alu instid0(VALU_DEP_3) | instskip(NEXT) | instid1(VALU_DEP_3)
	v_add_f32_e32 v14, v20, v25
	v_dual_add_f32 v16, v23, v11 :: v_dual_add_f32 v15, v21, v10
	s_delay_alu instid0(VALU_DEP_1) | instskip(NEXT) | instid1(VALU_DEP_2)
	v_dual_add_f32 v19, v13, v16 :: v_dual_sub_f32 v22, v16, v23
	v_dual_sub_f32 v12, v13, v12 :: v_dual_add_f32 v17, v14, v15
	v_sub_f32_e32 v21, v15, v21
	s_delay_alu instid0(VALU_DEP_3) | instskip(NEXT) | instid1(VALU_DEP_3)
	v_sub_f32_e32 v23, v19, v13
	v_dual_sub_f32 v11, v11, v22 :: v_dual_sub_f32 v12, v18, v12
	v_sub_f32_e32 v18, v14, v20
	v_sub_f32_e32 v20, v17, v14
	s_delay_alu instid0(VALU_DEP_4) | instskip(SKIP_2) | instid1(VALU_DEP_4)
	v_sub_f32_e32 v22, v19, v23
	v_sub_f32_e32 v10, v10, v21
	;; [unrolled: 1-line block ×3, first 2 shown]
	v_dual_sub_f32 v18, v25, v18 :: v_dual_sub_f32 v15, v15, v20
	s_delay_alu instid0(VALU_DEP_4) | instskip(NEXT) | instid1(VALU_DEP_1)
	v_sub_f32_e32 v13, v13, v22
	v_dual_sub_f32 v24, v17, v20 :: v_dual_add_f32 v13, v16, v13
	s_delay_alu instid0(VALU_DEP_1) | instskip(NEXT) | instid1(VALU_DEP_1)
	v_sub_f32_e32 v14, v14, v24
	v_dual_add_f32 v14, v15, v14 :: v_dual_add_f32 v15, v12, v11
	s_delay_alu instid0(VALU_DEP_1) | instskip(NEXT) | instid1(VALU_DEP_4)
	v_dual_sub_f32 v21, v15, v12 :: v_dual_add_f32 v20, v18, v10
	v_add_f32_e32 v13, v15, v13
	s_delay_alu instid0(VALU_DEP_2) | instskip(NEXT) | instid1(VALU_DEP_2)
	v_dual_sub_f32 v15, v15, v21 :: v_dual_sub_f32 v16, v20, v18
	v_dual_add_f32 v23, v19, v13 :: v_dual_add_f32 v14, v20, v14
	s_delay_alu instid0(VALU_DEP_2) | instskip(NEXT) | instid1(VALU_DEP_2)
	v_dual_sub_f32 v11, v11, v21 :: v_dual_sub_f32 v12, v12, v15
	v_dual_sub_f32 v20, v20, v16 :: v_dual_sub_f32 v15, v23, v19
	s_delay_alu instid0(VALU_DEP_2) | instskip(NEXT) | instid1(VALU_DEP_1)
	v_dual_add_f32 v22, v17, v14 :: v_dual_add_f32 v11, v11, v12
	v_dual_sub_f32 v12, v13, v15 :: v_dual_sub_f32 v17, v22, v17
	v_cndmask_b32_e64 v13, 2.0, 1.0, s0
	v_cmp_eq_f32_e64 s0, 1.0, v4
	s_delay_alu instid0(VALU_DEP_3) | instskip(NEXT) | instid1(VALU_DEP_3)
	v_dual_add_f32 v11, v11, v12 :: v_dual_sub_f32 v14, v14, v17
	v_trunc_f32_e32 v29, v13
	s_delay_alu instid0(VALU_DEP_3) | instskip(SKIP_4) | instid1(VALU_DEP_3)
	v_cndmask_b32_e64 v15, 2.0, 1.0, s0
	v_sub_f32_e32 v10, v10, v16
	v_sub_f32_e32 v16, v18, v20
	v_mul_f32_e32 v32, 0.5, v13
	v_cmp_eq_f32_e64 s2, v29, v13
	v_dual_mul_f32 v27, 0.5, v15 :: v_dual_add_f32 v10, v10, v16
	s_delay_alu instid0(VALU_DEP_1) | instskip(NEXT) | instid1(VALU_DEP_2)
	v_trunc_f32_e32 v33, v27
	v_add_f32_e32 v10, v10, v14
	v_add_f32_e32 v14, v23, v11
	s_delay_alu instid0(VALU_DEP_2) | instskip(NEXT) | instid1(VALU_DEP_2)
	v_add_f32_e32 v12, v22, v10
	v_dual_sub_f32 v18, v14, v23 :: v_dual_mul_f32 v19, v15, v14
	v_trunc_f32_e32 v23, v15
	s_delay_alu instid0(VALU_DEP_3) | instskip(NEXT) | instid1(VALU_DEP_3)
	v_sub_f32_e32 v16, v12, v22
	v_sub_f32_e32 v11, v11, v18
	s_delay_alu instid0(VALU_DEP_4) | instskip(SKIP_2) | instid1(VALU_DEP_3)
	v_fma_f32 v14, v15, v14, -v19
	v_mul_f32_e32 v17, v13, v12
	v_cmp_eq_f32_e64 s1, v23, v15
	v_fmac_f32_e32 v14, v15, v11
	s_delay_alu instid0(VALU_DEP_3) | instskip(SKIP_1) | instid1(VALU_DEP_3)
	v_fma_f32 v12, v13, v12, -v17
	v_cmp_class_f32_e64 s0, v17, 0x204
	v_dual_add_f32 v11, v19, v14 :: v_dual_sub_f32 v10, v10, v16
	s_delay_alu instid0(VALU_DEP_1) | instskip(SKIP_1) | instid1(VALU_DEP_2)
	v_fmac_f32_e32 v12, v13, v10
	v_trunc_f32_e32 v13, v32
	v_add_f32_e32 v10, v17, v12
	s_delay_alu instid0(VALU_DEP_2) | instskip(NEXT) | instid1(VALU_DEP_2)
	v_cmp_neq_f32_e64 s3, v13, v32
	v_cndmask_b32_e64 v16, v10, v17, s0
	v_cmp_class_f32_e64 s0, v19, 0x204
	v_sub_f32_e32 v10, v10, v17
	s_delay_alu instid0(VALU_DEP_4) | instskip(NEXT) | instid1(VALU_DEP_3)
	s_and_b32 s3, s2, s3
	v_cmp_neq_f32_e64 s4, 0x7f800000, |v16|
	s_delay_alu instid0(VALU_DEP_3) | instskip(SKIP_2) | instid1(VALU_DEP_2)
	v_cndmask_b32_e64 v18, v11, v19, s0
	v_sub_f32_e32 v11, v11, v19
	v_cmp_eq_f32_e64 s0, 0x42b17218, v16
	v_dual_sub_f32 v11, v14, v11 :: v_dual_sub_f32 v10, v12, v10
	s_delay_alu instid0(VALU_DEP_2) | instskip(SKIP_1) | instid1(VALU_DEP_3)
	v_cndmask_b32_e64 v20, 0, 0x37000000, s0
	v_cmp_eq_f32_e64 s0, 0x42b17218, v18
	v_cndmask_b32_e64 v10, 0, v10, s4
	v_cmp_neq_f32_e64 s4, 0x7f800000, |v18|
	s_delay_alu instid0(VALU_DEP_3) | instskip(SKIP_1) | instid1(VALU_DEP_4)
	v_cndmask_b32_e64 v21, 0, 0x37000000, s0
	v_cmp_eq_f32_e64 s0, 0, v4
	v_add_f32_e32 v10, v20, v10
	s_delay_alu instid0(VALU_DEP_4)
	v_cndmask_b32_e64 v11, 0, v11, s4
	v_sub_f32_e32 v22, v16, v20
	v_sub_f32_e32 v24, v18, v21
	v_cndmask_b32_e64 v26, 0x7f800000, 0, s0
	s_or_b32 s0, s0, s14
	v_add_f32_e32 v11, v21, v11
	s_delay_alu instid0(VALU_DEP_3) | instskip(SKIP_1) | instid1(VALU_DEP_2)
	v_dual_mul_f32 v25, 0x3fb8aa3b, v22 :: v_dual_mul_f32 v28, 0x3fb8aa3b, v24
	v_cmp_ngt_f32_e64 s4, 0xc2ce8ed0, v22
	v_fma_f32 v15, 0x3fb8aa3b, v22, -v25
	v_rndne_f32_e32 v23, v25
	s_delay_alu instid0(VALU_DEP_4) | instskip(SKIP_1) | instid1(VALU_DEP_4)
	v_fma_f32 v30, 0x3fb8aa3b, v24, -v28
	v_rndne_f32_e32 v31, v28
	v_fmac_f32_e32 v15, 0x32a5705f, v22
	s_delay_alu instid0(VALU_DEP_3) | instskip(NEXT) | instid1(VALU_DEP_3)
	v_dual_sub_f32 v25, v25, v23 :: v_dual_fmac_f32 v30, 0x32a5705f, v24
	v_sub_f32_e32 v28, v28, v31
	v_cvt_i32_f32_e32 v12, v23
	v_cvt_i32_f32_e32 v14, v31
	s_delay_alu instid0(VALU_DEP_4) | instskip(NEXT) | instid1(VALU_DEP_4)
	v_add_f32_e32 v15, v25, v15
	v_add_f32_e32 v25, v28, v30
	s_delay_alu instid0(VALU_DEP_2) | instskip(NEXT) | instid1(VALU_DEP_1)
	v_exp_f32_e32 v15, v15
	v_exp_f32_e32 v13, v25
	s_waitcnt_depctr 0xfff
	v_ldexp_f32 v12, v15, v12
	v_ldexp_f32 v13, v13, v14
	v_cndmask_b32_e64 v14, 1.0, v2, s3
	s_delay_alu instid0(VALU_DEP_3) | instskip(SKIP_1) | instid1(VALU_DEP_1)
	v_cndmask_b32_e64 v12, 0, v12, s4
	v_cmp_ngt_f32_e64 s4, 0xc2ce8ed0, v24
	v_cndmask_b32_e64 v13, 0, v13, s4
	v_cmp_nlt_f32_e64 s4, 0x42b17218, v22
	s_delay_alu instid0(VALU_DEP_1) | instskip(SKIP_1) | instid1(VALU_DEP_2)
	v_cndmask_b32_e64 v12, 0x7f800000, v12, s4
	v_cmp_nlt_f32_e64 s4, 0x42b17218, v24
	v_fma_f32 v10, v12, v10, v12
	s_delay_alu instid0(VALU_DEP_2) | instskip(SKIP_2) | instid1(VALU_DEP_3)
	v_cndmask_b32_e64 v13, 0x7f800000, v13, s4
	v_cmp_class_f32_e64 s5, v12, 0x204
	v_cmp_neq_f32_e64 s4, v33, v27
	v_fma_f32 v11, v13, v11, v13
	s_delay_alu instid0(VALU_DEP_3) | instskip(SKIP_1) | instid1(VALU_DEP_4)
	v_cndmask_b32_e64 v10, v10, v12, s5
	v_cmp_class_f32_e64 s5, v13, 0x204
	s_and_b32 s4, s1, s4
	s_delay_alu instid0(SALU_CYCLE_1) | instskip(NEXT) | instid1(VALU_DEP_3)
	v_cndmask_b32_e64 v12, 1.0, v4, s4
	v_bfi_b32 v10, 0x7fffffff, v10, v14
	s_delay_alu instid0(VALU_DEP_3) | instskip(SKIP_2) | instid1(VALU_DEP_4)
	v_cndmask_b32_e64 v11, v11, v13, s5
	v_cmp_eq_f32_e64 s5, 0, v2
	v_cndmask_b32_e64 v14, 0, v2, s3
	v_cndmask_b32_e64 v15, 0x7fc00000, v10, s2
	s_delay_alu instid0(VALU_DEP_4) | instskip(NEXT) | instid1(VALU_DEP_4)
	v_bfi_b32 v11, 0x7fffffff, v11, v12
	v_cndmask_b32_e64 v13, 0x7f800000, 0, s5
	v_cmp_eq_f32_e64 s2, 0x7f800000, v5
	v_cndmask_b32_e64 v12, 0, v4, s4
	s_delay_alu instid0(VALU_DEP_3) | instskip(SKIP_2) | instid1(VALU_DEP_4)
	v_bfi_b32 v5, 0x7fffffff, v13, v14
	v_cndmask_b32_e64 v13, 0x7fc00000, v11, s1
	v_cmp_gt_f32_e64 s1, 0, v2
	v_bfi_b32 v12, 0x7fffffff, v26, v12
	s_delay_alu instid0(VALU_DEP_2) | instskip(SKIP_1) | instid1(VALU_DEP_1)
	v_cndmask_b32_e64 v10, v10, v15, s1
	v_cmp_gt_f32_e64 s1, 0, v4
	v_cndmask_b32_e64 v11, v11, v13, s1
	s_or_b32 s1, s5, s2
	s_cmpk_lg_i32 s12, 0x74
	v_cndmask_b32_e64 v5, v10, v5, s1
	s_delay_alu instid0(VALU_DEP_2) | instskip(SKIP_1) | instid1(VALU_DEP_3)
	v_cndmask_b32_e64 v10, v11, v12, s0
	v_cmp_o_f32_e64 s0, v4, v4
	v_fma_f32 v5, 0x41200000, v5, 1.0
	s_delay_alu instid0(VALU_DEP_2) | instskip(SKIP_1) | instid1(VALU_DEP_1)
	v_cndmask_b32_e64 v4, 0x7fc00000, v10, s0
	v_cmp_o_f32_e64 s0, v2, v2
	v_cndmask_b32_e64 v2, 0x7fc00000, v5, s0
	s_delay_alu instid0(VALU_DEP_1)
	v_fmac_f32_e32 v9, v4, v2
	s_cbranch_scc0 .LBB1_11
.LBB1_7:                                ; =>This Inner Loop Header: Depth=1
	s_add_i32 s0, s12, 0
                                        ; implicit-def: $vgpr11
	s_mov_b32 s1, exec_lo
	scratch_load_b64 v[4:5], off, s0
	s_waitcnt vmcnt(0)
	v_add_f32_e32 v2, -1.0, v5
	s_delay_alu instid0(VALU_DEP_1) | instskip(NEXT) | instid1(VALU_DEP_1)
	v_fma_f32 v2, 0x3e800000, v2, 1.0
	v_mul_f32_e32 v5, 0x40490e56, v2
                                        ; implicit-def: $vgpr2
	s_delay_alu instid0(VALU_DEP_1)
	v_and_b32_e32 v10, 0x7fffffff, v5
	v_cmpx_ngt_f32_e64 0x48000000, |v5|
	s_xor_b32 s4, exec_lo, s1
	s_cbranch_execz .LBB1_9
; %bb.8:                                ;   in Loop: Header=BB1_7 Depth=1
	s_delay_alu instid0(VALU_DEP_2) | instskip(SKIP_1) | instid1(VALU_DEP_2)
	v_and_or_b32 v19, v10, s13, 0x800000
	v_lshrrev_b32_e32 v16, 23, v10
	v_mad_u64_u32 v[11:12], null, 0xfe5163ab, v19, 0
	s_delay_alu instid0(VALU_DEP_2) | instskip(NEXT) | instid1(VALU_DEP_1)
	v_add_nc_u32_e32 v17, 0xffffff88, v16
	v_cmp_lt_u32_e64 s0, 63, v17
	s_delay_alu instid0(VALU_DEP_3) | instskip(NEXT) | instid1(VALU_DEP_2)
	v_mov_b32_e32 v2, v12
	v_cndmask_b32_e64 v18, 0, 0xffffffc0, s0
	s_delay_alu instid0(VALU_DEP_2) | instskip(NEXT) | instid1(VALU_DEP_2)
	v_mad_u64_u32 v[12:13], null, 0x3c439041, v19, v[2:3]
	v_add_nc_u32_e32 v18, v18, v17
	s_delay_alu instid0(VALU_DEP_2) | instskip(NEXT) | instid1(VALU_DEP_2)
	v_mov_b32_e32 v2, v13
	v_cmp_lt_u32_e64 s1, 31, v18
	s_delay_alu instid0(VALU_DEP_2) | instskip(NEXT) | instid1(VALU_DEP_2)
	v_mad_u64_u32 v[13:14], null, 0xdb629599, v19, v[2:3]
	v_cndmask_b32_e64 v20, 0, 0xffffffe0, s1
	s_delay_alu instid0(VALU_DEP_1) | instskip(NEXT) | instid1(VALU_DEP_3)
	v_add_nc_u32_e32 v20, v20, v18
	v_mov_b32_e32 v2, v14
	s_delay_alu instid0(VALU_DEP_4) | instskip(NEXT) | instid1(VALU_DEP_3)
	v_cndmask_b32_e64 v11, v13, v11, s0
	v_cmp_lt_u32_e64 s2, 31, v20
	s_delay_alu instid0(VALU_DEP_3) | instskip(NEXT) | instid1(VALU_DEP_1)
	v_mad_u64_u32 v[14:15], null, 0xf534ddc0, v19, v[2:3]
	v_mov_b32_e32 v2, v15
	s_delay_alu instid0(VALU_DEP_2) | instskip(NEXT) | instid1(VALU_DEP_2)
	v_cndmask_b32_e64 v12, v14, v12, s0
	v_mad_u64_u32 v[15:16], null, 0xfc2757d1, v19, v[2:3]
	s_delay_alu instid0(VALU_DEP_2) | instskip(NEXT) | instid1(VALU_DEP_2)
	v_cndmask_b32_e64 v11, v12, v11, s1
	v_mov_b32_e32 v2, v16
	s_delay_alu instid0(VALU_DEP_1) | instskip(NEXT) | instid1(VALU_DEP_1)
	v_mad_u64_u32 v[16:17], null, 0x4e441529, v19, v[2:3]
	v_mov_b32_e32 v2, v17
	s_delay_alu instid0(VALU_DEP_1) | instskip(SKIP_1) | instid1(VALU_DEP_4)
	v_mad_u64_u32 v[17:18], null, 0xa2f9836e, v19, v[2:3]
	v_cndmask_b32_e64 v2, 0, 0xffffffe0, s2
	v_cndmask_b32_e64 v19, v16, v14, s0
	s_delay_alu instid0(VALU_DEP_2) | instskip(NEXT) | instid1(VALU_DEP_4)
	v_add_nc_u32_e32 v2, v2, v20
	v_cndmask_b32_e64 v17, v17, v15, s0
	v_cndmask_b32_e64 v16, v18, v16, s0
	;; [unrolled: 1-line block ×3, first 2 shown]
	s_delay_alu instid0(VALU_DEP_4) | instskip(NEXT) | instid1(VALU_DEP_4)
	v_sub_nc_u32_e32 v18, 32, v2
	v_cndmask_b32_e64 v14, v17, v19, s1
	s_delay_alu instid0(VALU_DEP_4) | instskip(NEXT) | instid1(VALU_DEP_4)
	v_cndmask_b32_e64 v16, v16, v17, s1
	v_cndmask_b32_e64 v17, v19, v15, s1
	;; [unrolled: 1-line block ×3, first 2 shown]
	v_cmp_eq_u32_e64 s3, 0, v2
	s_delay_alu instid0(VALU_DEP_4) | instskip(NEXT) | instid1(VALU_DEP_4)
	v_cndmask_b32_e64 v16, v16, v14, s2
	v_cndmask_b32_e64 v14, v14, v17, s2
	s_delay_alu instid0(VALU_DEP_4) | instskip(SKIP_1) | instid1(VALU_DEP_3)
	v_cndmask_b32_e64 v17, v17, v15, s2
	v_cndmask_b32_e64 v11, v15, v11, s2
	v_alignbit_b32 v19, v16, v14, v18
	s_delay_alu instid0(VALU_DEP_3) | instskip(NEXT) | instid1(VALU_DEP_3)
	v_alignbit_b32 v20, v14, v17, v18
	v_alignbit_b32 v18, v17, v11, v18
	s_delay_alu instid0(VALU_DEP_3) | instskip(NEXT) | instid1(VALU_DEP_3)
	v_cndmask_b32_e64 v2, v19, v16, s3
	v_cndmask_b32_e64 v13, v20, v14, s3
	s_delay_alu instid0(VALU_DEP_3) | instskip(NEXT) | instid1(VALU_DEP_3)
	v_cndmask_b32_e64 v17, v18, v17, s3
	v_bfe_u32 v14, v2, 29, 1
	s_delay_alu instid0(VALU_DEP_3) | instskip(NEXT) | instid1(VALU_DEP_3)
	v_alignbit_b32 v12, v2, v13, 30
	v_alignbit_b32 v13, v13, v17, 30
	;; [unrolled: 1-line block ×3, first 2 shown]
	s_delay_alu instid0(VALU_DEP_4) | instskip(NEXT) | instid1(VALU_DEP_1)
	v_sub_nc_u32_e32 v16, 0, v14
	v_xor_b32_e32 v15, v12, v16
	v_cmp_ne_u32_e64 s0, v12, v16
	v_xor_b32_e32 v13, v13, v16
	v_xor_b32_e32 v11, v11, v16
	s_delay_alu instid0(VALU_DEP_4) | instskip(NEXT) | instid1(VALU_DEP_1)
	v_clz_i32_u32_e32 v19, v15
	v_add_nc_u32_e32 v18, 1, v19
	s_delay_alu instid0(VALU_DEP_1) | instskip(NEXT) | instid1(VALU_DEP_1)
	v_cndmask_b32_e64 v12, 33, v18, s0
	v_sub_nc_u32_e32 v17, 32, v12
	s_delay_alu instid0(VALU_DEP_1) | instskip(SKIP_2) | instid1(VALU_DEP_2)
	v_alignbit_b32 v15, v15, v13, v17
	v_alignbit_b32 v11, v13, v11, v17
	v_lshrrev_b32_e32 v13, 29, v2
	v_alignbit_b32 v16, v15, v11, 9
	s_delay_alu instid0(VALU_DEP_2) | instskip(SKIP_1) | instid1(VALU_DEP_3)
	v_lshlrev_b32_e32 v13, 31, v13
	v_alignbit_b32 v15, v12, v15, 9
	v_clz_i32_u32_e32 v17, v16
	s_delay_alu instid0(VALU_DEP_2) | instskip(SKIP_1) | instid1(VALU_DEP_3)
	v_or_b32_e32 v15, v15, v13
	v_or_b32_e32 v13, 0x33800000, v13
	v_min_u32_e32 v17, 32, v17
	s_delay_alu instid0(VALU_DEP_3) | instskip(NEXT) | instid1(VALU_DEP_2)
	v_xor_b32_e32 v15, 1.0, v15
	v_sub_nc_u32_e32 v18, 31, v17
	v_add_lshl_u32 v12, v17, v12, 23
	s_delay_alu instid0(VALU_DEP_3) | instskip(NEXT) | instid1(VALU_DEP_3)
	v_mul_f32_e32 v17, 0x3fc90fda, v15
	v_alignbit_b32 v11, v16, v11, v18
	s_delay_alu instid0(VALU_DEP_3) | instskip(NEXT) | instid1(VALU_DEP_3)
	v_sub_nc_u32_e32 v12, v13, v12
	v_fma_f32 v13, 0x3fc90fda, v15, -v17
	s_delay_alu instid0(VALU_DEP_3) | instskip(NEXT) | instid1(VALU_DEP_2)
	v_lshrrev_b32_e32 v11, 9, v11
	v_fmac_f32_e32 v13, 0x33a22168, v15
	s_delay_alu instid0(VALU_DEP_2) | instskip(NEXT) | instid1(VALU_DEP_1)
	v_or_b32_e32 v11, v12, v11
	v_fmac_f32_e32 v13, 0x3fc90fda, v11
	v_lshrrev_b32_e32 v11, 30, v2
	s_delay_alu instid0(VALU_DEP_1)
	v_dual_add_f32 v2, v17, v13 :: v_dual_add_nc_u32 v11, v14, v11
.LBB1_9:                                ;   in Loop: Header=BB1_7 Depth=1
	s_and_not1_saveexec_b32 s0, s4
	s_cbranch_execz .LBB1_6
; %bb.10:                               ;   in Loop: Header=BB1_7 Depth=1
	v_mul_f32_e64 v2, 0x3f22f983, |v5|
	s_delay_alu instid0(VALU_DEP_1) | instskip(NEXT) | instid1(VALU_DEP_1)
	v_rndne_f32_e32 v11, v2
	v_fma_f32 v2, 0xbfc90fda, v11, |v5|
	s_delay_alu instid0(VALU_DEP_1) | instskip(NEXT) | instid1(VALU_DEP_1)
	v_fmac_f32_e32 v2, 0xb3a22168, v11
	v_fmac_f32_e32 v2, 0xa7c234c4, v11
	v_cvt_i32_f32_e32 v11, v11
	s_branch .LBB1_6
.LBB1_11:
	s_clause 0x1
	scratch_load_b32 v2, off, off offset:128
	scratch_load_b32 v4, off, off offset:244
	v_mov_b32_e32 v3, 1.0
                                        ; implicit-def: $vgpr10
                                        ; implicit-def: $vgpr5
	s_mov_b32 s1, exec_lo
	s_waitcnt vmcnt(1)
	v_add_f32_e32 v2, -1.0, v2
	s_delay_alu instid0(VALU_DEP_1) | instskip(NEXT) | instid1(VALU_DEP_1)
	v_fmamk_f32 v2, v2, 0x3e800000, v3
	v_mul_f32_e32 v3, 0x40490e56, v2
	s_delay_alu instid0(VALU_DEP_1)
	v_and_b32_e32 v2, 0x7fffffff, v3
	v_cmpx_ngt_f32_e64 0x48000000, |v3|
	s_xor_b32 s4, exec_lo, s1
	s_cbranch_execz .LBB1_13
; %bb.12:
	s_mov_b32 s0, 0x7fffff
	v_mov_b32_e32 v12, 0
	v_and_or_b32 v5, v2, s0, 0x800000
	v_lshrrev_b32_e32 v17, 23, v2
	s_delay_alu instid0(VALU_DEP_2) | instskip(NEXT) | instid1(VALU_DEP_2)
	v_mad_u64_u32 v[10:11], null, 0xfe5163ab, v5, 0
	v_add_nc_u32_e32 v18, 0xffffff88, v17
	s_delay_alu instid0(VALU_DEP_1) | instskip(NEXT) | instid1(VALU_DEP_3)
	v_cmp_lt_u32_e64 s0, 63, v18
	v_mad_u64_u32 v[13:14], null, 0x3c439041, v5, v[11:12]
	s_delay_alu instid0(VALU_DEP_2) | instskip(NEXT) | instid1(VALU_DEP_2)
	v_cndmask_b32_e64 v19, 0, 0xffffffc0, s0
	v_mov_b32_e32 v11, v14
	s_delay_alu instid0(VALU_DEP_2) | instskip(NEXT) | instid1(VALU_DEP_2)
	v_add_nc_u32_e32 v19, v19, v18
	v_mad_u64_u32 v[14:15], null, 0xdb629599, v5, v[11:12]
	s_delay_alu instid0(VALU_DEP_2) | instskip(NEXT) | instid1(VALU_DEP_1)
	v_cmp_lt_u32_e64 s1, 31, v19
	v_cndmask_b32_e64 v20, 0, 0xffffffe0, s1
	s_delay_alu instid0(VALU_DEP_3) | instskip(NEXT) | instid1(VALU_DEP_4)
	v_mov_b32_e32 v11, v15
	v_cndmask_b32_e64 v10, v14, v10, s0
	s_delay_alu instid0(VALU_DEP_3) | instskip(NEXT) | instid1(VALU_DEP_3)
	v_add_nc_u32_e32 v20, v20, v19
	v_mad_u64_u32 v[15:16], null, 0xf534ddc0, v5, v[11:12]
	s_delay_alu instid0(VALU_DEP_2) | instskip(NEXT) | instid1(VALU_DEP_2)
	v_cmp_lt_u32_e64 s2, 31, v20
	v_mov_b32_e32 v11, v16
	s_delay_alu instid0(VALU_DEP_3) | instskip(NEXT) | instid1(VALU_DEP_2)
	v_cndmask_b32_e64 v13, v15, v13, s0
	v_mad_u64_u32 v[16:17], null, 0xfc2757d1, v5, v[11:12]
	s_delay_alu instid0(VALU_DEP_2) | instskip(NEXT) | instid1(VALU_DEP_2)
	v_cndmask_b32_e64 v10, v13, v10, s1
	v_mov_b32_e32 v11, v17
	s_delay_alu instid0(VALU_DEP_1) | instskip(NEXT) | instid1(VALU_DEP_1)
	v_mad_u64_u32 v[17:18], null, 0x4e441529, v5, v[11:12]
	v_mov_b32_e32 v11, v18
	s_delay_alu instid0(VALU_DEP_1) | instskip(SKIP_1) | instid1(VALU_DEP_4)
	v_mad_u64_u32 v[18:19], null, 0xa2f9836e, v5, v[11:12]
	v_cndmask_b32_e64 v5, 0, 0xffffffe0, s2
	v_cndmask_b32_e64 v11, v17, v15, s0
	s_delay_alu instid0(VALU_DEP_2) | instskip(NEXT) | instid1(VALU_DEP_4)
	v_add_nc_u32_e32 v5, v5, v20
	v_cndmask_b32_e64 v12, v18, v16, s0
	v_cndmask_b32_e64 v17, v19, v17, s0
	;; [unrolled: 1-line block ×3, first 2 shown]
	s_delay_alu instid0(VALU_DEP_4) | instskip(NEXT) | instid1(VALU_DEP_4)
	v_cmp_eq_u32_e64 s3, 0, v5
	v_cndmask_b32_e64 v15, v12, v11, s1
	s_delay_alu instid0(VALU_DEP_4) | instskip(NEXT) | instid1(VALU_DEP_4)
	v_cndmask_b32_e64 v12, v17, v12, s1
	v_cndmask_b32_e64 v11, v11, v16, s1
	v_sub_nc_u32_e32 v17, 32, v5
	v_cndmask_b32_e64 v16, v16, v13, s1
	s_delay_alu instid0(VALU_DEP_4) | instskip(NEXT) | instid1(VALU_DEP_4)
	v_cndmask_b32_e64 v12, v12, v15, s2
	v_cndmask_b32_e64 v15, v15, v11, s2
	s_delay_alu instid0(VALU_DEP_3) | instskip(SKIP_1) | instid1(VALU_DEP_3)
	v_cndmask_b32_e64 v11, v11, v16, s2
	v_cndmask_b32_e64 v10, v16, v10, s2
	v_alignbit_b32 v18, v12, v15, v17
	s_delay_alu instid0(VALU_DEP_3) | instskip(NEXT) | instid1(VALU_DEP_3)
	v_alignbit_b32 v19, v15, v11, v17
	v_alignbit_b32 v17, v11, v10, v17
	s_delay_alu instid0(VALU_DEP_3) | instskip(NEXT) | instid1(VALU_DEP_3)
	v_cndmask_b32_e64 v5, v18, v12, s3
	v_cndmask_b32_e64 v12, v19, v15, s3
	s_delay_alu instid0(VALU_DEP_3) | instskip(NEXT) | instid1(VALU_DEP_3)
	v_cndmask_b32_e64 v11, v17, v11, s3
	v_bfe_u32 v14, v5, 29, 1
	s_delay_alu instid0(VALU_DEP_3) | instskip(NEXT) | instid1(VALU_DEP_3)
	v_alignbit_b32 v13, v5, v12, 30
	v_alignbit_b32 v12, v12, v11, 30
	;; [unrolled: 1-line block ×3, first 2 shown]
	s_delay_alu instid0(VALU_DEP_4) | instskip(NEXT) | instid1(VALU_DEP_1)
	v_sub_nc_u32_e32 v15, 0, v14
	v_xor_b32_e32 v16, v13, v15
	v_cmp_ne_u32_e64 s0, v13, v15
	v_xor_b32_e32 v11, v12, v15
	v_xor_b32_e32 v10, v10, v15
	s_delay_alu instid0(VALU_DEP_4) | instskip(NEXT) | instid1(VALU_DEP_1)
	v_clz_i32_u32_e32 v18, v16
	v_add_nc_u32_e32 v17, 1, v18
	s_delay_alu instid0(VALU_DEP_1) | instskip(NEXT) | instid1(VALU_DEP_1)
	v_cndmask_b32_e64 v13, 33, v17, s0
	v_sub_nc_u32_e32 v12, 32, v13
	s_delay_alu instid0(VALU_DEP_1) | instskip(SKIP_2) | instid1(VALU_DEP_2)
	v_alignbit_b32 v15, v16, v11, v12
	v_alignbit_b32 v10, v11, v10, v12
	v_lshrrev_b32_e32 v11, 29, v5
	v_alignbit_b32 v12, v15, v10, 9
	s_delay_alu instid0(VALU_DEP_2) | instskip(SKIP_1) | instid1(VALU_DEP_3)
	v_lshlrev_b32_e32 v11, 31, v11
	v_alignbit_b32 v15, v13, v15, 9
	v_clz_i32_u32_e32 v16, v12
	s_delay_alu instid0(VALU_DEP_2) | instskip(SKIP_1) | instid1(VALU_DEP_3)
	v_or_b32_e32 v15, v15, v11
	v_or_b32_e32 v11, 0x33800000, v11
	v_min_u32_e32 v16, 32, v16
	s_delay_alu instid0(VALU_DEP_3) | instskip(NEXT) | instid1(VALU_DEP_2)
	v_xor_b32_e32 v15, 1.0, v15
	v_sub_nc_u32_e32 v17, 31, v16
	v_add_lshl_u32 v13, v16, v13, 23
	s_delay_alu instid0(VALU_DEP_3) | instskip(NEXT) | instid1(VALU_DEP_3)
	v_mul_f32_e32 v16, 0x3fc90fda, v15
	v_alignbit_b32 v10, v12, v10, v17
	s_delay_alu instid0(VALU_DEP_3) | instskip(NEXT) | instid1(VALU_DEP_3)
	v_sub_nc_u32_e32 v11, v11, v13
	v_fma_f32 v12, 0x3fc90fda, v15, -v16
	s_delay_alu instid0(VALU_DEP_3) | instskip(NEXT) | instid1(VALU_DEP_2)
	v_lshrrev_b32_e32 v10, 9, v10
	v_fmamk_f32 v12, v15, 0x33a22168, v12
	s_delay_alu instid0(VALU_DEP_2) | instskip(NEXT) | instid1(VALU_DEP_1)
	v_or_b32_e32 v10, v11, v10
	v_fmac_f32_e32 v12, 0x3fc90fda, v10
	v_lshrrev_b32_e32 v10, 30, v5
	s_delay_alu instid0(VALU_DEP_1)
	v_dual_add_f32 v5, v16, v12 :: v_dual_add_nc_u32 v10, v14, v10
.LBB1_13:
	s_and_not1_saveexec_b32 s0, s4
; %bb.14:
	v_mul_f32_e64 v5, 0x3f22f983, |v3|
	s_delay_alu instid0(VALU_DEP_1) | instskip(NEXT) | instid1(VALU_DEP_1)
	v_rndne_f32_e32 v10, v5
	v_fma_f32 v5, 0xbfc90fda, v10, |v3|
	s_delay_alu instid0(VALU_DEP_1) | instskip(NEXT) | instid1(VALU_DEP_1)
	v_fmamk_f32 v5, v10, 0xb3a22168, v5
	v_fmamk_f32 v5, v10, 0xa7c234c4, v5
	v_cvt_i32_f32_e32 v10, v10
; %bb.15:
	s_or_b32 exec_lo, exec_lo, s0
	s_waitcnt vmcnt(0)
	s_delay_alu instid0(VALU_DEP_2) | instskip(SKIP_3) | instid1(VALU_DEP_1)
	v_dual_mul_f32 v11, v5, v5 :: v_dual_add_f32 v4, -1.0, v4
	s_mov_b32 s9, 0xb94c1982
	s_mov_b32 s10, 0x37d75334
	;; [unrolled: 1-line block ×3, first 2 shown]
	v_fmaak_f32 v12, s9, v11, 0x3c0881c4
	s_mov_b32 s13, 0x7fffff
	v_and_b32_e32 v14, 1, v10
	v_lshlrev_b32_e32 v10, 30, v10
	s_delay_alu instid0(VALU_DEP_3) | instskip(SKIP_1) | instid1(VALU_DEP_4)
	v_fmaak_f32 v12, v11, v12, 0xbe2aaa9d
	v_fmaak_f32 v13, s10, v11, 0xbab64f3b
	v_cmp_eq_u32_e64 s0, 0, v14
	s_delay_alu instid0(VALU_DEP_3) | instskip(NEXT) | instid1(VALU_DEP_3)
	v_mul_f32_e32 v12, v11, v12
	v_fmaak_f32 v13, v11, v13, 0x3d2aabf7
	s_delay_alu instid0(VALU_DEP_2) | instskip(NEXT) | instid1(VALU_DEP_2)
	v_fmac_f32_e32 v5, v5, v12
	v_fmaak_f32 v13, v11, v13, 0xbf000004
	v_xor_b32_e32 v12, v2, v3
	v_fma_f32 v2, 0x3e800000, v4, 1.0
	v_and_b32_e32 v4, 0x80000000, v10
	s_delay_alu instid0(VALU_DEP_4) | instskip(NEXT) | instid1(VALU_DEP_3)
	v_fma_f32 v11, v11, v13, 1.0
	v_add_f32_e32 v2, -1.0, v2
	s_delay_alu instid0(VALU_DEP_2) | instskip(SKIP_1) | instid1(VALU_DEP_2)
	v_cndmask_b32_e64 v5, v11, v5, s0
	v_cmp_class_f32_e64 s0, v3, 0x1f8
	v_xor3_b32 v4, v12, v4, v5
	s_delay_alu instid0(VALU_DEP_4) | instskip(NEXT) | instid1(VALU_DEP_2)
	v_frexp_mant_f32_e64 v5, |v2|
	v_cndmask_b32_e64 v3, 0x7fc00000, v4, s0
	v_cndmask_b32_e64 v4, 0x7fc00000, |v4|, s0
	s_delay_alu instid0(VALU_DEP_3) | instskip(NEXT) | instid1(VALU_DEP_2)
	v_cmp_gt_f32_e64 s0, 0x3f2aaaab, v5
	v_frexp_mant_f32_e32 v11, v4
	s_delay_alu instid0(VALU_DEP_2) | instskip(NEXT) | instid1(VALU_DEP_2)
	v_cndmask_b32_e64 v10, 1.0, 2.0, s0
	v_cmp_gt_f32_e64 s1, 0x3f2aaaab, v11
	s_delay_alu instid0(VALU_DEP_2) | instskip(NEXT) | instid1(VALU_DEP_2)
	v_mul_f32_e32 v5, v5, v10
	v_cndmask_b32_e64 v10, 1.0, 2.0, s1
	s_delay_alu instid0(VALU_DEP_1) | instskip(NEXT) | instid1(VALU_DEP_1)
	v_mul_f32_e32 v10, v11, v10
	v_dual_add_f32 v12, 1.0, v5 :: v_dual_add_f32 v17, -1.0, v10
	s_delay_alu instid0(VALU_DEP_1) | instskip(SKIP_2) | instid1(VALU_DEP_2)
	v_rcp_f32_e32 v11, v12
	v_dual_add_f32 v13, 1.0, v10 :: v_dual_add_f32 v18, -1.0, v12
	v_add_f32_e32 v14, -1.0, v5
	v_rcp_f32_e32 v15, v13
	s_waitcnt_depctr 0xfff
	v_dual_sub_f32 v5, v5, v18 :: v_dual_mul_f32 v16, v14, v11
	s_delay_alu instid0(VALU_DEP_1) | instskip(SKIP_2) | instid1(VALU_DEP_3)
	v_dual_mul_f32 v19, v12, v16 :: v_dual_add_f32 v18, -1.0, v13
	v_mul_f32_e32 v20, v17, v15
	v_cmp_class_f32_e64 s12, v2, 0x204
	v_fma_f32 v12, v16, v12, -v19
	s_delay_alu instid0(VALU_DEP_1) | instskip(SKIP_1) | instid1(VALU_DEP_2)
	v_dual_mul_f32 v21, v13, v20 :: v_dual_fmac_f32 v12, v16, v5
	v_sub_f32_e32 v5, v10, v18
	v_fma_f32 v10, v20, v13, -v21
	s_delay_alu instid0(VALU_DEP_1) | instskip(NEXT) | instid1(VALU_DEP_1)
	v_fmac_f32_e32 v10, v20, v5
	v_add_f32_e32 v18, v21, v10
	s_delay_alu instid0(VALU_DEP_1) | instskip(NEXT) | instid1(VALU_DEP_1)
	v_sub_f32_e32 v22, v17, v18
	v_sub_f32_e32 v17, v17, v22
	v_add_f32_e32 v13, v19, v12
	s_delay_alu instid0(VALU_DEP_1) | instskip(NEXT) | instid1(VALU_DEP_1)
	v_sub_f32_e32 v5, v14, v13
	v_dual_sub_f32 v19, v13, v19 :: v_dual_sub_f32 v14, v14, v5
	s_delay_alu instid0(VALU_DEP_1) | instskip(SKIP_1) | instid1(VALU_DEP_2)
	v_dual_sub_f32 v12, v19, v12 :: v_dual_sub_f32 v13, v14, v13
	v_sub_f32_e32 v14, v18, v21
	v_dual_add_f32 v12, v12, v13 :: v_dual_sub_f32 v13, v17, v18
	s_delay_alu instid0(VALU_DEP_1) | instskip(NEXT) | instid1(VALU_DEP_1)
	v_dual_sub_f32 v10, v14, v10 :: v_dual_add_f32 v5, v5, v12
	v_add_f32_e32 v10, v10, v13
	s_delay_alu instid0(VALU_DEP_1) | instskip(NEXT) | instid1(VALU_DEP_1)
	v_dual_mul_f32 v5, v11, v5 :: v_dual_add_f32 v10, v22, v10
	v_add_f32_e32 v14, v16, v5
	s_delay_alu instid0(VALU_DEP_1) | instskip(NEXT) | instid1(VALU_DEP_1)
	v_sub_f32_e32 v13, v14, v16
	v_dual_mul_f32 v16, v14, v14 :: v_dual_sub_f32 v5, v5, v13
	s_delay_alu instid0(VALU_DEP_1) | instskip(NEXT) | instid1(VALU_DEP_2)
	v_fma_f32 v17, v14, v14, -v16
	v_add_f32_e32 v18, v5, v5
	s_delay_alu instid0(VALU_DEP_1) | instskip(NEXT) | instid1(VALU_DEP_1)
	v_fmac_f32_e32 v17, v14, v18
	v_add_f32_e32 v22, v16, v17
	v_mul_f32_e32 v12, v15, v10
	v_cvt_f64_f32_e64 v[10:11], |v2|
	s_delay_alu instid0(VALU_DEP_3) | instskip(NEXT) | instid1(VALU_DEP_3)
	v_sub_f32_e32 v16, v22, v16
	v_add_f32_e32 v15, v20, v12
	s_delay_alu instid0(VALU_DEP_1) | instskip(NEXT) | instid1(VALU_DEP_1)
	v_sub_f32_e32 v13, v15, v20
	v_dual_mul_f32 v19, v15, v15 :: v_dual_sub_f32 v20, v12, v13
	s_delay_alu instid0(VALU_DEP_1) | instskip(SKIP_1) | instid1(VALU_DEP_3)
	v_fma_f32 v18, v15, v15, -v19
	v_cvt_f64_f32_e32 v[12:13], v4
	v_add_f32_e32 v21, v20, v20
	s_delay_alu instid0(VALU_DEP_1) | instskip(NEXT) | instid1(VALU_DEP_1)
	v_fmac_f32_e32 v18, v15, v21
	v_add_f32_e32 v23, v19, v18
	v_frexp_exp_i32_f64_e32 v10, v[10:11]
	v_sub_f32_e32 v11, v17, v16
	v_fmaak_f32 v21, s11, v22, 0x3e91f4c4
	s_delay_alu instid0(VALU_DEP_4) | instskip(NEXT) | instid1(VALU_DEP_2)
	v_sub_f32_e32 v17, v23, v19
	v_fmaak_f32 v21, v22, v21, 0x3ecccdef
	s_delay_alu instid0(VALU_DEP_2) | instskip(NEXT) | instid1(VALU_DEP_1)
	v_dual_fmaak_f32 v24, s11, v23, 0x3e91f4c4 :: v_dual_sub_f32 v17, v18, v17
	v_dual_mul_f32 v25, v22, v21 :: v_dual_fmaak_f32 v24, v23, v24, 0x3ecccdef
	v_frexp_exp_i32_f64_e32 v12, v[12:13]
	s_delay_alu instid0(VALU_DEP_2) | instskip(NEXT) | instid1(VALU_DEP_3)
	v_fma_f32 v16, v22, v21, -v25
	v_mul_f32_e32 v19, v23, v24
	s_delay_alu instid0(VALU_DEP_2) | instskip(NEXT) | instid1(VALU_DEP_2)
	v_dual_fmac_f32 v16, v11, v21 :: v_dual_mul_f32 v21, v14, v22
	v_fma_f32 v18, v23, v24, -v19
	s_delay_alu instid0(VALU_DEP_2) | instskip(NEXT) | instid1(VALU_DEP_2)
	v_add_f32_e32 v26, v25, v16
	v_fmac_f32_e32 v18, v17, v24
	s_delay_alu instid0(VALU_DEP_4) | instskip(NEXT) | instid1(VALU_DEP_3)
	v_fma_f32 v24, v22, v14, -v21
	v_sub_f32_e32 v25, v26, v25
	s_delay_alu instid0(VALU_DEP_1)
	v_sub_f32_e32 v13, v16, v25
	v_add_f32_e32 v27, 0x3f2aaaaa, v26
	v_add_f32_e32 v28, v19, v18
	v_mul_f32_e32 v25, v15, v23
	v_subrev_co_ci_u32_e64 v10, s0, 0, v10, s0
	v_add_f32_e32 v13, 0x31739010, v13
	s_delay_alu instid0(VALU_DEP_4) | instskip(SKIP_3) | instid1(VALU_DEP_4)
	v_dual_fmac_f32 v24, v22, v5 :: v_dual_sub_f32 v19, v28, v19
	v_add_f32_e32 v22, 0x3f2aaaaa, v28
	v_add_f32_e32 v16, 0xbf2aaaaa, v27
	v_cvt_f32_i32_e32 v10, v10
	v_fmac_f32_e32 v24, v11, v14
	s_delay_alu instid0(VALU_DEP_4) | instskip(NEXT) | instid1(VALU_DEP_4)
	v_dual_sub_f32 v18, v18, v19 :: v_dual_add_f32 v19, 0xbf2aaaaa, v22
	v_sub_f32_e32 v16, v26, v16
	v_fma_f32 v26, v23, v15, -v25
	v_subrev_co_ci_u32_e64 v12, s0, 0, v12, s1
	v_ldexp_f32 v5, v5, 1
	s_delay_alu instid0(VALU_DEP_4) | instskip(NEXT) | instid1(VALU_DEP_4)
	v_add_f32_e32 v11, v13, v16
	v_dual_add_f32 v13, 0x31739010, v18 :: v_dual_fmac_f32 v26, v23, v20
	s_delay_alu instid0(VALU_DEP_4) | instskip(SKIP_2) | instid1(VALU_DEP_4)
	v_cvt_f32_i32_e32 v12, v12
	v_ldexp_f32 v20, v20, 1
	v_cmp_eq_f32_e64 s0, 1.0, v2
	v_fmac_f32_e32 v26, v17, v15
	v_add_f32_e32 v18, v27, v11
	v_ldexp_f32 v15, v15, 1
	s_delay_alu instid0(VALU_DEP_3) | instskip(NEXT) | instid1(VALU_DEP_3)
	v_dual_add_f32 v23, v25, v26 :: v_dual_sub_f32 v16, v28, v19
	v_sub_f32_e32 v17, v27, v18
	s_delay_alu instid0(VALU_DEP_2) | instskip(NEXT) | instid1(VALU_DEP_2)
	v_add_f32_e32 v13, v13, v16
	v_dual_add_f32 v16, v21, v24 :: v_dual_add_f32 v11, v11, v17
	s_delay_alu instid0(VALU_DEP_2) | instskip(NEXT) | instid1(VALU_DEP_2)
	v_add_f32_e32 v19, v22, v13
	v_mul_f32_e32 v27, v16, v18
	v_sub_f32_e32 v21, v16, v21
	s_delay_alu instid0(VALU_DEP_3) | instskip(SKIP_1) | instid1(VALU_DEP_4)
	v_sub_f32_e32 v17, v22, v19
	v_mul_f32_e32 v22, v23, v19
	v_fma_f32 v28, v16, v18, -v27
	s_delay_alu instid0(VALU_DEP_4) | instskip(SKIP_4) | instid1(VALU_DEP_2)
	v_sub_f32_e32 v21, v24, v21
	v_sub_f32_e32 v24, v23, v25
	v_add_f32_e32 v13, v13, v17
	v_fma_f32 v17, v23, v19, -v22
	v_fmac_f32_e32 v28, v16, v11
	v_dual_sub_f32 v16, v26, v24 :: v_dual_fmac_f32 v17, v23, v13
	s_delay_alu instid0(VALU_DEP_2) | instskip(SKIP_2) | instid1(VALU_DEP_3)
	v_fmac_f32_e32 v28, v21, v18
	v_mul_f32_e32 v11, 0x3f317218, v10
	v_ldexp_f32 v13, v14, 1
	v_dual_fmac_f32 v17, v16, v19 :: v_dual_add_f32 v16, v27, v28
	s_delay_alu instid0(VALU_DEP_3) | instskip(NEXT) | instid1(VALU_DEP_2)
	v_fma_f32 v14, 0x3f317218, v10, -v11
	v_dual_add_f32 v18, v22, v17 :: v_dual_add_f32 v19, v13, v16
	s_delay_alu instid0(VALU_DEP_2) | instskip(NEXT) | instid1(VALU_DEP_2)
	v_dual_sub_f32 v21, v16, v27 :: v_dual_fmac_f32 v14, 0xb102e308, v10
	v_sub_f32_e32 v22, v18, v22
	v_add_f32_e32 v24, v15, v18
	s_delay_alu instid0(VALU_DEP_4) | instskip(NEXT) | instid1(VALU_DEP_3)
	v_sub_f32_e32 v13, v19, v13
	v_sub_f32_e32 v17, v17, v22
	s_delay_alu instid0(VALU_DEP_3) | instskip(NEXT) | instid1(VALU_DEP_3)
	v_sub_f32_e32 v15, v24, v15
	v_sub_f32_e32 v13, v16, v13
	s_delay_alu instid0(VALU_DEP_3) | instskip(NEXT) | instid1(VALU_DEP_3)
	v_add_f32_e32 v17, v20, v17
	v_sub_f32_e32 v15, v18, v15
	s_delay_alu instid0(VALU_DEP_1) | instskip(NEXT) | instid1(VALU_DEP_1)
	v_dual_mul_f32 v23, 0x3f317218, v12 :: v_dual_add_f32 v10, v17, v15
	v_fma_f32 v16, 0x3f317218, v12, -v23
	v_sub_f32_e32 v21, v28, v21
	s_delay_alu instid0(VALU_DEP_2) | instskip(SKIP_1) | instid1(VALU_DEP_2)
	v_dual_add_f32 v17, v24, v10 :: v_dual_fmac_f32 v16, 0xb102e308, v12
	v_add_f32_e32 v12, v11, v14
	v_add_f32_e32 v15, v23, v16
	s_delay_alu instid0(VALU_DEP_1) | instskip(SKIP_3) | instid1(VALU_DEP_4)
	v_dual_sub_f32 v11, v12, v11 :: v_dual_add_f32 v20, v15, v17
	v_add_f32_e32 v5, v5, v21
	v_sub_f32_e32 v21, v15, v23
	v_sub_f32_e32 v23, v17, v24
	;; [unrolled: 1-line block ×3, first 2 shown]
	s_delay_alu instid0(VALU_DEP_4) | instskip(NEXT) | instid1(VALU_DEP_4)
	v_add_f32_e32 v5, v5, v13
	v_sub_f32_e32 v16, v16, v21
	s_delay_alu instid0(VALU_DEP_2) | instskip(NEXT) | instid1(VALU_DEP_1)
	v_dual_sub_f32 v10, v10, v23 :: v_dual_add_f32 v13, v19, v5
	v_sub_f32_e32 v14, v13, v19
	v_sub_f32_e32 v19, v20, v15
	s_delay_alu instid0(VALU_DEP_1) | instskip(NEXT) | instid1(VALU_DEP_1)
	v_dual_sub_f32 v5, v5, v14 :: v_dual_sub_f32 v14, v20, v19
	v_dual_sub_f32 v17, v17, v19 :: v_dual_sub_f32 v14, v15, v14
	s_delay_alu instid0(VALU_DEP_1) | instskip(SKIP_1) | instid1(VALU_DEP_1)
	v_add_f32_e32 v14, v17, v14
	v_add_f32_e32 v18, v12, v13
	v_sub_f32_e32 v22, v18, v12
	s_delay_alu instid0(VALU_DEP_1) | instskip(NEXT) | instid1(VALU_DEP_1)
	v_sub_f32_e32 v21, v18, v22
	v_dual_sub_f32 v13, v13, v22 :: v_dual_sub_f32 v12, v12, v21
	s_delay_alu instid0(VALU_DEP_1) | instskip(NEXT) | instid1(VALU_DEP_1)
	v_dual_add_f32 v12, v13, v12 :: v_dual_add_f32 v13, v16, v10
	v_sub_f32_e32 v19, v13, v16
	v_add_f32_e32 v14, v13, v14
	s_delay_alu instid0(VALU_DEP_2) | instskip(NEXT) | instid1(VALU_DEP_1)
	v_sub_f32_e32 v13, v13, v19
	v_dual_sub_f32 v10, v10, v19 :: v_dual_sub_f32 v13, v16, v13
	s_delay_alu instid0(VALU_DEP_1) | instskip(SKIP_1) | instid1(VALU_DEP_1)
	v_add_f32_e32 v10, v10, v13
	v_add_f32_e32 v15, v11, v5
	v_sub_f32_e32 v17, v15, v11
	v_add_f32_e32 v12, v15, v12
	s_delay_alu instid0(VALU_DEP_2) | instskip(NEXT) | instid1(VALU_DEP_2)
	v_sub_f32_e32 v15, v15, v17
	v_add_f32_e32 v21, v18, v12
	v_sub_f32_e32 v5, v5, v17
	v_add_f32_e32 v17, v20, v14
	s_delay_alu instid0(VALU_DEP_4) | instskip(NEXT) | instid1(VALU_DEP_4)
	v_sub_f32_e32 v11, v11, v15
	v_sub_f32_e32 v15, v21, v18
	s_delay_alu instid0(VALU_DEP_3) | instskip(NEXT) | instid1(VALU_DEP_3)
	v_sub_f32_e32 v16, v17, v20
	v_add_f32_e32 v5, v5, v11
	s_delay_alu instid0(VALU_DEP_2) | instskip(NEXT) | instid1(VALU_DEP_1)
	v_dual_sub_f32 v11, v12, v15 :: v_dual_sub_f32 v12, v14, v16
	v_dual_add_f32 v5, v5, v11 :: v_dual_add_f32 v10, v10, v12
	v_cndmask_b32_e64 v12, 2.0, 1.0, s0
	v_cmp_eq_f32_e64 s0, 1.0, v3
	s_delay_alu instid0(VALU_DEP_3) | instskip(NEXT) | instid1(VALU_DEP_4)
	v_add_f32_e32 v11, v21, v5
	v_add_f32_e32 v13, v17, v10
	s_delay_alu instid0(VALU_DEP_4) | instskip(NEXT) | instid1(VALU_DEP_4)
	v_trunc_f32_e32 v27, v12
	v_cndmask_b32_e64 v14, 2.0, 1.0, s0
	s_delay_alu instid0(VALU_DEP_4) | instskip(NEXT) | instid1(VALU_DEP_4)
	v_dual_sub_f32 v15, v11, v21 :: v_dual_mul_f32 v16, v12, v11
	v_sub_f32_e32 v17, v13, v17
	s_delay_alu instid0(VALU_DEP_3) | instskip(NEXT) | instid1(VALU_DEP_3)
	v_dual_mul_f32 v25, 0.5, v12 :: v_dual_mul_f32 v18, v14, v13
	v_sub_f32_e32 v5, v5, v15
	s_delay_alu instid0(VALU_DEP_4) | instskip(NEXT) | instid1(VALU_DEP_4)
	v_fma_f32 v11, v12, v11, -v16
	v_sub_f32_e32 v10, v10, v17
	v_cmp_class_f32_e64 s0, v16, 0x204
	v_fma_f32 v13, v14, v13, -v18
	v_cmp_eq_f32_e64 s1, v27, v12
	v_fmac_f32_e32 v11, v12, v5
	v_trunc_f32_e32 v30, v25
	s_delay_alu instid0(VALU_DEP_4) | instskip(NEXT) | instid1(VALU_DEP_3)
	v_fmac_f32_e32 v13, v14, v10
	v_add_f32_e32 v5, v16, v11
	s_delay_alu instid0(VALU_DEP_3) | instskip(NEXT) | instid1(VALU_DEP_3)
	v_cmp_neq_f32_e64 s2, v30, v25
	v_dual_mul_f32 v25, 0.5, v14 :: v_dual_add_f32 v10, v18, v13
	s_delay_alu instid0(VALU_DEP_3)
	v_cndmask_b32_e64 v15, v5, v16, s0
	v_cmp_class_f32_e64 s0, v18, 0x204
	v_sub_f32_e32 v5, v5, v16
	v_trunc_f32_e32 v16, v14
	s_and_b32 s2, s1, s2
	v_cmp_neq_f32_e64 s4, 0x7f800000, |v15|
	v_cndmask_b32_e64 v17, v10, v18, s0
	v_cmp_eq_f32_e64 s0, 0x42b17218, v15
	v_dual_sub_f32 v5, v11, v5 :: v_dual_sub_f32 v10, v10, v18
	v_cmp_eq_f32_e64 s3, v16, v14
	s_delay_alu instid0(VALU_DEP_3) | instskip(SKIP_1) | instid1(VALU_DEP_4)
	v_cndmask_b32_e64 v19, 0, 0x37000000, s0
	v_cmp_eq_f32_e64 s0, 0x42b17218, v17
	v_sub_f32_e32 v10, v13, v10
	v_cndmask_b32_e64 v5, 0, v5, s4
	v_cndmask_b32_e64 v13, 1.0, v2, s2
	v_sub_f32_e32 v21, v15, v19
	v_cndmask_b32_e64 v20, 0, 0x37000000, s0
	v_trunc_f32_e32 v15, v25
	v_add_f32_e32 v5, v19, v5
	v_cmp_eq_f32_e64 s0, 0, v2
	s_delay_alu instid0(VALU_DEP_4) | instskip(SKIP_1) | instid1(VALU_DEP_3)
	v_dual_mul_f32 v23, 0x3fb8aa3b, v21 :: v_dual_sub_f32 v22, v17, v20
	v_cmp_ngt_f32_e64 s4, 0xc2ce8ed0, v21
	v_cndmask_b32_e64 v24, 0x7f800000, 0, s0
	s_delay_alu instid0(VALU_DEP_3) | instskip(NEXT) | instid1(VALU_DEP_4)
	v_fma_f32 v28, 0x3fb8aa3b, v21, -v23
	v_mul_f32_e32 v26, 0x3fb8aa3b, v22
	v_rndne_f32_e32 v29, v23
	s_or_b32 s0, s0, s12
	s_mov_b32 s12, 0
	v_fmac_f32_e32 v28, 0x32a5705f, v21
	v_fma_f32 v31, 0x3fb8aa3b, v22, -v26
	v_rndne_f32_e32 v32, v26
	v_sub_f32_e32 v23, v23, v29
	s_delay_alu instid0(VALU_DEP_2) | instskip(NEXT) | instid1(VALU_DEP_2)
	v_dual_fmac_f32 v31, 0x32a5705f, v22 :: v_dual_sub_f32 v12, v26, v32
	v_add_f32_e32 v23, v23, v28
	v_cvt_i32_f32_e32 v14, v32
	s_delay_alu instid0(VALU_DEP_3) | instskip(NEXT) | instid1(VALU_DEP_3)
	v_add_f32_e32 v12, v12, v31
	v_exp_f32_e32 v23, v23
	s_delay_alu instid0(VALU_DEP_1) | instskip(SKIP_4) | instid1(VALU_DEP_2)
	v_exp_f32_e32 v11, v12
	v_cvt_i32_f32_e32 v12, v29
	s_waitcnt_depctr 0xfff
	v_ldexp_f32 v12, v23, v12
	v_ldexp_f32 v11, v11, v14
	v_cndmask_b32_e64 v12, 0, v12, s4
	v_cmp_neq_f32_e64 s4, 0x7f800000, |v17|
	s_delay_alu instid0(VALU_DEP_1) | instskip(SKIP_1) | instid1(VALU_DEP_2)
	v_cndmask_b32_e64 v10, 0, v10, s4
	v_cmp_ngt_f32_e64 s4, 0xc2ce8ed0, v22
	v_add_f32_e32 v10, v20, v10
	s_delay_alu instid0(VALU_DEP_2) | instskip(SKIP_1) | instid1(VALU_DEP_1)
	v_cndmask_b32_e64 v11, 0, v11, s4
	v_cmp_nlt_f32_e64 s4, 0x42b17218, v21
	v_cndmask_b32_e64 v12, 0x7f800000, v12, s4
	v_cmp_nlt_f32_e64 s4, 0x42b17218, v22
	s_delay_alu instid0(VALU_DEP_2) | instskip(NEXT) | instid1(VALU_DEP_2)
	v_fma_f32 v5, v12, v5, v12
	v_cndmask_b32_e64 v11, 0x7f800000, v11, s4
	v_cmp_class_f32_e64 s5, v12, 0x204
	v_cmp_neq_f32_e64 s4, v15, v25
	s_delay_alu instid0(VALU_DEP_3) | instskip(NEXT) | instid1(VALU_DEP_3)
	v_fma_f32 v10, v11, v10, v11
	v_cndmask_b32_e64 v5, v5, v12, s5
	v_cmp_class_f32_e64 s5, v11, 0x204
	s_delay_alu instid0(VALU_DEP_4) | instskip(NEXT) | instid1(SALU_CYCLE_1)
	s_and_b32 s4, s3, s4
	v_cndmask_b32_e64 v12, 1.0, v3, s4
	s_delay_alu instid0(VALU_DEP_3) | instskip(NEXT) | instid1(VALU_DEP_3)
	v_bfi_b32 v5, 0x7fffffff, v5, v13
	v_cndmask_b32_e64 v10, v10, v11, s5
	v_cndmask_b32_e64 v11, 0, v2, s2
	v_cmp_eq_f32_e64 s2, 0, v3
	s_delay_alu instid0(VALU_DEP_3)
	v_bfi_b32 v10, 0x7fffffff, v10, v12
	v_cndmask_b32_e64 v12, 0, v3, s4
	v_cmp_eq_f32_e64 s4, 0x7f800000, v4
	v_cndmask_b32_e64 v4, 0x7fc00000, v5, s1
	v_cmp_gt_f32_e64 s1, 0, v2
	v_cndmask_b32_e64 v13, 0x7f800000, 0, s2
	v_cndmask_b32_e64 v14, 0x7fc00000, v10, s3
	v_bfi_b32 v11, 0x7fffffff, v24, v11
	s_delay_alu instid0(VALU_DEP_4) | instskip(SKIP_2) | instid1(VALU_DEP_3)
	v_cndmask_b32_e64 v4, v5, v4, s1
	v_cmp_gt_f32_e64 s1, 0, v3
	v_bfi_b32 v12, 0x7fffffff, v13, v12
	v_cndmask_b32_e64 v4, v4, v11, s0
	s_delay_alu instid0(VALU_DEP_3)
	v_cndmask_b32_e64 v5, v10, v14, s1
	s_or_b32 s0, s2, s4
	s_delay_alu instid0(VALU_DEP_1) | instid1(SALU_CYCLE_1)
	v_cndmask_b32_e64 v5, v5, v12, s0
	v_cmp_o_f32_e64 s0, v2, v2
	s_delay_alu instid0(VALU_DEP_1) | instskip(SKIP_1) | instid1(VALU_DEP_1)
	v_cndmask_b32_e64 v2, 0x7fc00000, v4, s0
	v_cmp_o_f32_e64 s0, v3, v3
	v_cndmask_b32_e64 v3, 0x7fc00000, v5, s0
	s_delay_alu instid0(VALU_DEP_1)
	v_dual_add_f32 v10, v2, v3 :: v_dual_mov_b32 v3, 0
	s_branch .LBB1_17
.LBB1_16:                               ;   in Loop: Header=BB1_17 Depth=1
	s_or_b32 exec_lo, exec_lo, s0
	s_delay_alu instid0(VALU_DEP_1) | instskip(SKIP_3) | instid1(VALU_DEP_3)
	v_dual_mul_f32 v13, v2, v2 :: v_dual_and_b32 v16, 1, v12
	v_add_f32_e32 v4, -1.0, v4
	v_xor_b32_e32 v11, v11, v5
	s_add_i32 s12, s12, 4
	v_fmaak_f32 v14, s9, v13, 0x3c0881c4
	v_cmp_eq_u32_e64 s0, 0, v16
	v_fma_f32 v4, 0x3e800000, v4, 1.0
	v_lshlrev_b32_e32 v12, 30, v12
	s_delay_alu instid0(VALU_DEP_4) | instskip(NEXT) | instid1(VALU_DEP_3)
	v_fmaak_f32 v14, v13, v14, 0xbe2aaa9d
	v_dual_fmaak_f32 v15, s10, v13, 0xbab64f3b :: v_dual_add_f32 v4, -1.0, v4
	s_delay_alu instid0(VALU_DEP_3) | instskip(NEXT) | instid1(VALU_DEP_3)
	v_and_b32_e32 v12, 0x80000000, v12
	v_mul_f32_e32 v14, v13, v14
	s_delay_alu instid0(VALU_DEP_1) | instskip(NEXT) | instid1(VALU_DEP_1)
	v_dual_fmaak_f32 v15, v13, v15, 0x3d2aabf7 :: v_dual_fmac_f32 v2, v2, v14
	v_fmaak_f32 v15, v13, v15, 0xbf000004
	s_delay_alu instid0(VALU_DEP_1) | instskip(NEXT) | instid1(VALU_DEP_1)
	v_fma_f32 v13, v13, v15, 1.0
	v_cndmask_b32_e64 v2, v13, v2, s0
	v_cmp_class_f32_e64 s0, v5, 0x1f8
	s_delay_alu instid0(VALU_DEP_2) | instskip(NEXT) | instid1(VALU_DEP_1)
	v_xor3_b32 v11, v11, v12, v2
	v_cndmask_b32_e64 v2, 0x7fc00000, v11, s0
	v_cndmask_b32_e64 v5, 0x7fc00000, |v11|, s0
	v_frexp_mant_f32_e64 v11, |v4|
	s_delay_alu instid0(VALU_DEP_2) | instskip(NEXT) | instid1(VALU_DEP_2)
	v_frexp_mant_f32_e32 v12, v5
	v_cmp_gt_f32_e64 s0, 0x3f2aaaab, v11
	s_delay_alu instid0(VALU_DEP_2) | instskip(NEXT) | instid1(VALU_DEP_2)
	v_cmp_gt_f32_e64 s1, 0x3f2aaaab, v12
	v_cndmask_b32_e64 v13, 1.0, 2.0, s0
	s_delay_alu instid0(VALU_DEP_2) | instskip(NEXT) | instid1(VALU_DEP_2)
	v_cndmask_b32_e64 v14, 1.0, 2.0, s1
	v_mul_f32_e32 v11, v11, v13
	s_delay_alu instid0(VALU_DEP_1) | instskip(SKIP_1) | instid1(VALU_DEP_2)
	v_add_f32_e32 v13, 1.0, v11
	v_add_f32_e32 v17, -1.0, v11
	v_rcp_f32_e32 v15, v13
	v_dual_add_f32 v21, -1.0, v13 :: v_dual_mul_f32 v12, v12, v14
	v_cmp_class_f32_e64 s14, v4, 0x204
	s_delay_alu instid0(VALU_DEP_2) | instskip(SKIP_2) | instid1(VALU_DEP_1)
	v_sub_f32_e32 v11, v11, v21
	s_waitcnt_depctr 0xfff
	v_mul_f32_e32 v19, v17, v15
	v_mul_f32_e32 v22, v13, v19
	s_delay_alu instid0(VALU_DEP_1) | instskip(NEXT) | instid1(VALU_DEP_1)
	v_fma_f32 v13, v19, v13, -v22
	v_dual_add_f32 v14, 1.0, v12 :: v_dual_fmac_f32 v13, v19, v11
	s_delay_alu instid0(VALU_DEP_1) | instskip(SKIP_1) | instid1(VALU_DEP_1)
	v_rcp_f32_e32 v16, v14
	v_dual_add_f32 v18, -1.0, v12 :: v_dual_add_f32 v23, -1.0, v14
	v_dual_add_f32 v11, v22, v13 :: v_dual_sub_f32 v12, v12, v23
	s_waitcnt_depctr 0xfff
	v_dual_sub_f32 v21, v17, v11 :: v_dual_mul_f32 v20, v18, v16
	s_delay_alu instid0(VALU_DEP_1) | instskip(NEXT) | instid1(VALU_DEP_1)
	v_dual_sub_f32 v17, v17, v21 :: v_dual_mul_f32 v24, v14, v20
	v_fma_f32 v14, v20, v14, -v24
	s_delay_alu instid0(VALU_DEP_1) | instskip(NEXT) | instid1(VALU_DEP_1)
	v_fmac_f32_e32 v14, v20, v12
	v_add_f32_e32 v12, v24, v14
	s_delay_alu instid0(VALU_DEP_1) | instskip(SKIP_1) | instid1(VALU_DEP_2)
	v_dual_sub_f32 v23, v18, v12 :: v_dual_sub_f32 v22, v11, v22
	v_sub_f32_e32 v11, v17, v11
	v_sub_f32_e32 v13, v22, v13
	s_delay_alu instid0(VALU_DEP_1) | instskip(NEXT) | instid1(VALU_DEP_1)
	v_dual_add_f32 v11, v13, v11 :: v_dual_sub_f32 v24, v12, v24
	v_dual_add_f32 v11, v21, v11 :: v_dual_sub_f32 v14, v24, v14
	s_delay_alu instid0(VALU_DEP_1) | instskip(NEXT) | instid1(VALU_DEP_1)
	v_mul_f32_e32 v13, v15, v11
	v_dual_sub_f32 v18, v18, v23 :: v_dual_add_f32 v15, v19, v13
	s_delay_alu instid0(VALU_DEP_1) | instskip(NEXT) | instid1(VALU_DEP_1)
	v_dual_sub_f32 v12, v18, v12 :: v_dual_sub_f32 v17, v15, v19
	v_dual_add_f32 v12, v14, v12 :: v_dual_mul_f32 v19, v15, v15
	s_delay_alu instid0(VALU_DEP_1) | instskip(NEXT) | instid1(VALU_DEP_2)
	v_dual_sub_f32 v17, v13, v17 :: v_dual_add_f32 v12, v23, v12
	v_fma_f32 v21, v15, v15, -v19
	s_delay_alu instid0(VALU_DEP_2) | instskip(NEXT) | instid1(VALU_DEP_3)
	v_add_f32_e32 v22, v17, v17
	v_mul_f32_e32 v14, v16, v12
	v_cvt_f64_f32_e64 v[11:12], |v4|
	s_delay_alu instid0(VALU_DEP_3) | instskip(NEXT) | instid1(VALU_DEP_1)
	v_fmac_f32_e32 v21, v15, v22
	v_add_f32_e32 v22, v19, v21
	s_delay_alu instid0(VALU_DEP_1) | instskip(SKIP_1) | instid1(VALU_DEP_1)
	v_fmaak_f32 v25, s11, v22, 0x3e91f4c4
	v_dual_add_f32 v16, v20, v14 :: v_dual_sub_f32 v19, v22, v19
	v_dual_fmaak_f32 v25, v22, v25, 0x3ecccdef :: v_dual_sub_f32 v18, v16, v20
	s_delay_alu instid0(VALU_DEP_1) | instskip(NEXT) | instid1(VALU_DEP_1)
	v_dual_mul_f32 v20, v16, v16 :: v_dual_mul_f32 v27, v22, v25
	v_fma_f32 v23, v16, v16, -v20
	s_delay_alu instid0(VALU_DEP_3) | instskip(SKIP_4) | instid1(VALU_DEP_1)
	v_sub_f32_e32 v18, v14, v18
	v_cvt_f64_f32_e32 v[13:14], v5
	v_frexp_exp_i32_f64_e32 v11, v[11:12]
	v_sub_f32_e32 v12, v21, v19
	v_fma_f32 v19, v22, v25, -v27
	v_dual_add_f32 v24, v18, v18 :: v_dual_fmac_f32 v19, v12, v25
	s_delay_alu instid0(VALU_DEP_1) | instskip(NEXT) | instid1(VALU_DEP_1)
	v_fmac_f32_e32 v23, v16, v24
	v_add_f32_e32 v24, v20, v23
	s_delay_alu instid0(VALU_DEP_1) | instskip(SKIP_1) | instid1(VALU_DEP_2)
	v_fmaak_f32 v26, s11, v24, 0x3e91f4c4
	v_sub_f32_e32 v20, v24, v20
	v_fmaak_f32 v26, v24, v26, 0x3ecccdef
	s_delay_alu instid0(VALU_DEP_2) | instskip(SKIP_1) | instid1(VALU_DEP_3)
	v_sub_f32_e32 v20, v23, v20
	v_frexp_exp_i32_f64_e32 v13, v[13:14]
	v_mul_f32_e32 v28, v24, v26
	s_delay_alu instid0(VALU_DEP_1) | instskip(NEXT) | instid1(VALU_DEP_1)
	v_fma_f32 v21, v24, v26, -v28
	v_dual_fmac_f32 v21, v20, v26 :: v_dual_add_f32 v26, v27, v19
	v_subrev_co_ci_u32_e64 v11, s0, 0, v11, s0
	s_delay_alu instid0(VALU_DEP_2) | instskip(SKIP_1) | instid1(VALU_DEP_3)
	v_sub_f32_e32 v27, v26, v27
	v_mul_f32_e32 v23, v15, v22
	v_cvt_f32_i32_e32 v11, v11
	s_delay_alu instid0(VALU_DEP_3) | instskip(NEXT) | instid1(VALU_DEP_3)
	v_sub_f32_e32 v19, v19, v27
	v_fma_f32 v25, v22, v15, -v23
	s_delay_alu instid0(VALU_DEP_2) | instskip(NEXT) | instid1(VALU_DEP_2)
	v_dual_add_f32 v14, v28, v21 :: v_dual_add_f32 v19, 0x31739010, v19
	v_fmac_f32_e32 v25, v22, v17
	s_delay_alu instid0(VALU_DEP_2) | instskip(SKIP_1) | instid1(VALU_DEP_2)
	v_sub_f32_e32 v28, v14, v28
	v_ldexp_f32 v17, v17, 1
	v_sub_f32_e32 v21, v21, v28
	v_dual_mul_f32 v22, v16, v24 :: v_dual_add_f32 v29, 0x3f2aaaaa, v26
	s_delay_alu instid0(VALU_DEP_2) | instskip(NEXT) | instid1(VALU_DEP_2)
	v_add_f32_e32 v21, 0x31739010, v21
	v_fma_f32 v31, v24, v16, -v22
	s_delay_alu instid0(VALU_DEP_3) | instskip(SKIP_1) | instid1(VALU_DEP_3)
	v_add_f32_e32 v27, 0xbf2aaaaa, v29
	v_fmac_f32_e32 v25, v12, v15
	v_fmac_f32_e32 v31, v24, v18
	v_add_f32_e32 v30, 0x3f2aaaaa, v14
	s_delay_alu instid0(VALU_DEP_4) | instskip(SKIP_1) | instid1(VALU_DEP_3)
	v_sub_f32_e32 v24, v26, v27
	v_ldexp_f32 v18, v18, 1
	v_dual_fmac_f32 v31, v20, v16 :: v_dual_add_f32 v28, 0xbf2aaaaa, v30
	s_delay_alu instid0(VALU_DEP_3) | instskip(NEXT) | instid1(VALU_DEP_2)
	v_add_f32_e32 v12, v19, v24
	v_dual_add_f32 v19, v23, v25 :: v_dual_sub_f32 v14, v14, v28
	s_delay_alu instid0(VALU_DEP_1) | instskip(NEXT) | instid1(VALU_DEP_1)
	v_dual_sub_f32 v23, v19, v23 :: v_dual_add_f32 v14, v21, v14
	v_sub_f32_e32 v23, v25, v23
	s_delay_alu instid0(VALU_DEP_4) | instskip(NEXT) | instid1(VALU_DEP_1)
	v_dual_add_f32 v21, v29, v12 :: v_dual_add_f32 v20, v22, v31
	v_sub_f32_e32 v26, v29, v21
	s_delay_alu instid0(VALU_DEP_1) | instskip(SKIP_1) | instid1(VALU_DEP_1)
	v_dual_mul_f32 v29, v19, v21 :: v_dual_add_f32 v12, v12, v26
	v_add_f32_e32 v24, v30, v14
	v_sub_f32_e32 v27, v30, v24
	s_delay_alu instid0(VALU_DEP_1) | instskip(NEXT) | instid1(VALU_DEP_4)
	v_add_f32_e32 v14, v14, v27
	v_fma_f32 v27, v19, v21, -v29
	s_delay_alu instid0(VALU_DEP_1) | instskip(SKIP_3) | instid1(VALU_DEP_4)
	v_fmac_f32_e32 v27, v19, v12
	v_mul_f32_e32 v28, v20, v24
	v_subrev_co_ci_u32_e64 v12, s0, 0, v13, s1
	v_mul_f32_e32 v13, 0x3f317218, v11
	v_fmac_f32_e32 v27, v23, v21
	s_delay_alu instid0(VALU_DEP_4) | instskip(NEXT) | instid1(VALU_DEP_4)
	v_fma_f32 v26, v20, v24, -v28
	v_cvt_f32_i32_e32 v12, v12
	v_sub_f32_e32 v22, v20, v22
	v_fma_f32 v19, 0x3f317218, v11, -v13
	v_cmp_eq_f32_e64 s0, 1.0, v2
	v_fmac_f32_e32 v26, v20, v14
	v_dual_add_f32 v20, v29, v27 :: v_dual_mul_f32 v21, 0x3f317218, v12
	v_sub_f32_e32 v22, v31, v22
	v_ldexp_f32 v14, v15, 1
	v_ldexp_f32 v15, v16, 1
	s_delay_alu instid0(VALU_DEP_4) | instskip(SKIP_1) | instid1(VALU_DEP_2)
	v_sub_f32_e32 v25, v20, v29
	v_fmac_f32_e32 v19, 0xb102e308, v11
	v_dual_sub_f32 v25, v27, v25 :: v_dual_fmac_f32 v26, v22, v24
	s_delay_alu instid0(VALU_DEP_1) | instskip(NEXT) | instid1(VALU_DEP_2)
	v_dual_add_f32 v24, v14, v20 :: v_dual_add_f32 v17, v17, v25
	v_add_f32_e32 v16, v28, v26
	s_delay_alu instid0(VALU_DEP_2) | instskip(NEXT) | instid1(VALU_DEP_2)
	v_sub_f32_e32 v14, v24, v14
	v_add_f32_e32 v22, v15, v16
	v_sub_f32_e32 v23, v16, v28
	s_delay_alu instid0(VALU_DEP_2) | instskip(NEXT) | instid1(VALU_DEP_1)
	v_sub_f32_e32 v15, v22, v15
	v_sub_f32_e32 v15, v16, v15
	s_delay_alu instid0(VALU_DEP_3) | instskip(SKIP_1) | instid1(VALU_DEP_1)
	v_sub_f32_e32 v23, v26, v23
	v_fma_f32 v26, 0x3f317218, v12, -v21
	v_fmac_f32_e32 v26, 0xb102e308, v12
	s_delay_alu instid0(VALU_DEP_3) | instskip(NEXT) | instid1(VALU_DEP_1)
	v_add_f32_e32 v16, v18, v23
	v_add_f32_e32 v11, v16, v15
	s_delay_alu instid0(VALU_DEP_3) | instskip(SKIP_1) | instid1(VALU_DEP_3)
	v_add_f32_e32 v15, v21, v26
	v_sub_f32_e32 v14, v20, v14
	v_add_f32_e32 v16, v22, v11
	s_delay_alu instid0(VALU_DEP_2) | instskip(NEXT) | instid1(VALU_DEP_2)
	v_add_f32_e32 v12, v17, v14
	v_add_f32_e32 v18, v15, v16
	;; [unrolled: 1-line block ×3, first 2 shown]
	s_delay_alu instid0(VALU_DEP_1) | instskip(NEXT) | instid1(VALU_DEP_4)
	v_sub_f32_e32 v13, v14, v13
	v_add_f32_e32 v17, v24, v12
	s_delay_alu instid0(VALU_DEP_2) | instskip(SKIP_1) | instid1(VALU_DEP_3)
	v_sub_f32_e32 v13, v19, v13
	v_sub_f32_e32 v19, v15, v21
	;; [unrolled: 1-line block ×3, first 2 shown]
	s_delay_alu instid0(VALU_DEP_2) | instskip(SKIP_1) | instid1(VALU_DEP_1)
	v_sub_f32_e32 v19, v26, v19
	v_sub_f32_e32 v21, v18, v15
	v_dual_sub_f32 v25, v18, v21 :: v_dual_sub_f32 v22, v16, v22
	s_delay_alu instid0(VALU_DEP_1) | instskip(NEXT) | instid1(VALU_DEP_2)
	v_sub_f32_e32 v15, v15, v25
	v_dual_add_f32 v20, v14, v17 :: v_dual_sub_f32 v11, v11, v22
	s_delay_alu instid0(VALU_DEP_1) | instskip(SKIP_1) | instid1(VALU_DEP_3)
	v_sub_f32_e32 v24, v20, v14
	v_sub_f32_e32 v12, v12, v23
	v_dual_sub_f32 v16, v16, v21 :: v_dual_add_f32 v21, v19, v11
	s_delay_alu instid0(VALU_DEP_3) | instskip(SKIP_1) | instid1(VALU_DEP_3)
	v_sub_f32_e32 v17, v17, v24
	v_sub_f32_e32 v23, v20, v24
	v_dual_add_f32 v15, v16, v15 :: v_dual_add_f32 v16, v13, v12
	s_delay_alu instid0(VALU_DEP_2) | instskip(NEXT) | instid1(VALU_DEP_2)
	v_sub_f32_e32 v14, v14, v23
	v_sub_f32_e32 v22, v16, v13
	s_delay_alu instid0(VALU_DEP_2) | instskip(SKIP_1) | instid1(VALU_DEP_3)
	v_add_f32_e32 v14, v17, v14
	v_sub_f32_e32 v17, v21, v19
	v_dual_add_f32 v15, v21, v15 :: v_dual_sub_f32 v12, v12, v22
	s_delay_alu instid0(VALU_DEP_2) | instskip(NEXT) | instid1(VALU_DEP_2)
	v_dual_add_f32 v14, v16, v14 :: v_dual_sub_f32 v21, v21, v17
	v_dual_add_f32 v23, v18, v15 :: v_dual_sub_f32 v16, v16, v22
	s_delay_alu instid0(VALU_DEP_2) | instskip(NEXT) | instid1(VALU_DEP_3)
	v_dual_sub_f32 v11, v11, v17 :: v_dual_add_f32 v24, v20, v14
	v_sub_f32_e32 v17, v19, v21
	s_delay_alu instid0(VALU_DEP_3) | instskip(NEXT) | instid1(VALU_DEP_2)
	v_dual_sub_f32 v18, v23, v18 :: v_dual_sub_f32 v13, v13, v16
	v_dual_sub_f32 v16, v24, v20 :: v_dual_add_f32 v11, v11, v17
	s_delay_alu instid0(VALU_DEP_2) | instskip(NEXT) | instid1(VALU_DEP_2)
	v_dual_sub_f32 v15, v15, v18 :: v_dual_add_f32 v12, v12, v13
	v_sub_f32_e32 v13, v14, v16
	v_cndmask_b32_e64 v14, 2.0, 1.0, s0
	v_cmp_eq_f32_e64 s0, 1.0, v4
	s_delay_alu instid0(VALU_DEP_3) | instskip(NEXT) | instid1(VALU_DEP_3)
	v_dual_add_f32 v11, v11, v15 :: v_dual_add_f32 v12, v12, v13
	v_trunc_f32_e32 v30, v14
	s_delay_alu instid0(VALU_DEP_3) | instskip(NEXT) | instid1(VALU_DEP_3)
	v_cndmask_b32_e64 v16, 2.0, 1.0, s0
	v_add_f32_e32 v13, v23, v11
	s_delay_alu instid0(VALU_DEP_3) | instskip(NEXT) | instid1(VALU_DEP_3)
	v_cmp_eq_f32_e64 s2, v30, v14
	v_mul_f32_e32 v28, 0.5, v16
	s_delay_alu instid0(VALU_DEP_3) | instskip(SKIP_1) | instid1(VALU_DEP_3)
	v_dual_add_f32 v15, v24, v12 :: v_dual_mul_f32 v18, v14, v13
	v_sub_f32_e32 v17, v13, v23
	v_trunc_f32_e32 v34, v28
	s_delay_alu instid0(VALU_DEP_3) | instskip(NEXT) | instid1(VALU_DEP_3)
	v_dual_mul_f32 v20, v16, v15 :: v_dual_sub_f32 v19, v15, v24
	v_sub_f32_e32 v11, v11, v17
	v_fma_f32 v13, v14, v13, -v18
	v_cmp_class_f32_e64 s0, v18, 0x204
	s_delay_alu instid0(VALU_DEP_4) | instskip(SKIP_2) | instid1(VALU_DEP_2)
	v_fma_f32 v15, v16, v15, -v20
	v_sub_f32_e32 v12, v12, v19
	v_trunc_f32_e32 v24, v16
	v_fmac_f32_e32 v15, v16, v12
	s_delay_alu instid0(VALU_DEP_2) | instskip(NEXT) | instid1(VALU_DEP_2)
	v_cmp_eq_f32_e64 s1, v24, v16
	v_add_f32_e32 v12, v20, v15
	v_fmac_f32_e32 v13, v14, v11
	s_delay_alu instid0(VALU_DEP_1) | instskip(NEXT) | instid1(VALU_DEP_1)
	v_add_f32_e32 v11, v18, v13
	v_cndmask_b32_e64 v17, v11, v18, s0
	v_cmp_class_f32_e64 s0, v20, 0x204
	s_delay_alu instid0(VALU_DEP_2) | instskip(NEXT) | instid1(VALU_DEP_2)
	v_cmp_neq_f32_e64 s4, 0x7f800000, |v17|
	v_cndmask_b32_e64 v19, v12, v20, s0
	v_cmp_eq_f32_e64 s0, 0x42b17218, v17
	v_sub_f32_e32 v12, v12, v20
	s_delay_alu instid0(VALU_DEP_2) | instskip(NEXT) | instid1(VALU_DEP_4)
	v_cndmask_b32_e64 v21, 0, 0x37000000, s0
	v_cmp_eq_f32_e64 s0, 0x42b17218, v19
	s_delay_alu instid0(VALU_DEP_2) | instskip(NEXT) | instid1(VALU_DEP_2)
	v_sub_f32_e32 v23, v17, v21
	v_cndmask_b32_e64 v22, 0, 0x37000000, s0
	v_cmp_eq_f32_e64 s0, 0, v4
	s_delay_alu instid0(VALU_DEP_2) | instskip(SKIP_1) | instid1(VALU_DEP_3)
	v_dual_mul_f32 v26, 0x3fb8aa3b, v23 :: v_dual_sub_f32 v25, v19, v22
	v_sub_f32_e32 v12, v15, v12
	v_cndmask_b32_e64 v27, 0x7f800000, 0, s0
	s_or_b32 s0, s0, s14
	s_delay_alu instid0(VALU_DEP_3) | instskip(SKIP_2) | instid1(VALU_DEP_3)
	v_fma_f32 v16, 0x3fb8aa3b, v23, -v26
	v_mul_f32_e32 v29, 0x3fb8aa3b, v25
	v_rndne_f32_e32 v24, v26
	v_dual_fmac_f32 v16, 0x32a5705f, v23 :: v_dual_sub_f32 v11, v11, v18
	s_delay_alu instid0(VALU_DEP_3) | instskip(SKIP_1) | instid1(VALU_DEP_3)
	v_fma_f32 v31, 0x3fb8aa3b, v25, -v29
	v_rndne_f32_e32 v32, v29
	v_dual_sub_f32 v26, v26, v24 :: v_dual_sub_f32 v11, v13, v11
	s_delay_alu instid0(VALU_DEP_3) | instskip(NEXT) | instid1(VALU_DEP_3)
	v_fmac_f32_e32 v31, 0x32a5705f, v25
	v_sub_f32_e32 v29, v29, v32
	s_delay_alu instid0(VALU_DEP_3)
	v_add_f32_e32 v16, v26, v16
	v_cvt_i32_f32_e32 v13, v24
	v_cndmask_b32_e64 v11, 0, v11, s4
	v_cmp_neq_f32_e64 s4, 0x7f800000, |v19|
	v_add_f32_e32 v26, v29, v31
	v_exp_f32_e32 v16, v16
	v_cvt_i32_f32_e32 v15, v32
	v_add_f32_e32 v11, v21, v11
	v_cndmask_b32_e64 v12, 0, v12, s4
	v_mul_f32_e32 v33, 0.5, v14
	v_cmp_ngt_f32_e64 s4, 0xc2ce8ed0, v23
	s_delay_alu instid0(VALU_DEP_3) | instskip(NEXT) | instid1(VALU_DEP_3)
	v_add_f32_e32 v12, v22, v12
	v_trunc_f32_e32 v14, v33
	s_delay_alu instid0(TRANS32_DEP_1) | instskip(NEXT) | instid1(VALU_DEP_2)
	v_ldexp_f32 v13, v16, v13
	v_cmp_neq_f32_e64 s3, v14, v33
	v_exp_f32_e32 v14, v26
	s_delay_alu instid0(VALU_DEP_2) | instskip(SKIP_1) | instid1(VALU_DEP_3)
	v_cndmask_b32_e64 v13, 0, v13, s4
	v_cmp_ngt_f32_e64 s4, 0xc2ce8ed0, v25
	s_and_b32 s3, s2, s3
	s_waitcnt_depctr 0xfff
	v_ldexp_f32 v14, v14, v15
	v_cndmask_b32_e64 v15, 1.0, v2, s3
	s_delay_alu instid0(VALU_DEP_2) | instskip(SKIP_1) | instid1(VALU_DEP_1)
	v_cndmask_b32_e64 v14, 0, v14, s4
	v_cmp_nlt_f32_e64 s4, 0x42b17218, v23
	v_cndmask_b32_e64 v13, 0x7f800000, v13, s4
	v_cmp_nlt_f32_e64 s4, 0x42b17218, v25
	s_delay_alu instid0(VALU_DEP_2) | instskip(NEXT) | instid1(VALU_DEP_2)
	v_fma_f32 v11, v13, v11, v13
	v_cndmask_b32_e64 v14, 0x7f800000, v14, s4
	v_cmp_class_f32_e64 s5, v13, 0x204
	v_cmp_neq_f32_e64 s4, v34, v28
	s_delay_alu instid0(VALU_DEP_3) | instskip(NEXT) | instid1(VALU_DEP_3)
	v_fma_f32 v12, v14, v12, v14
	v_cndmask_b32_e64 v11, v11, v13, s5
	v_cmp_class_f32_e64 s5, v14, 0x204
	s_delay_alu instid0(VALU_DEP_4) | instskip(NEXT) | instid1(SALU_CYCLE_1)
	s_and_b32 s4, s1, s4
	v_cndmask_b32_e64 v13, 1.0, v4, s4
	s_delay_alu instid0(VALU_DEP_3) | instskip(NEXT) | instid1(VALU_DEP_3)
	v_bfi_b32 v11, 0x7fffffff, v11, v15
	v_cndmask_b32_e64 v12, v12, v14, s5
	v_cmp_eq_f32_e64 s5, 0, v2
	v_cndmask_b32_e64 v15, 0, v2, s3
	s_delay_alu instid0(VALU_DEP_4) | instskip(NEXT) | instid1(VALU_DEP_4)
	v_cndmask_b32_e64 v16, 0x7fc00000, v11, s2
	v_bfi_b32 v12, 0x7fffffff, v12, v13
	s_delay_alu instid0(VALU_DEP_4) | instskip(SKIP_2) | instid1(VALU_DEP_3)
	v_cndmask_b32_e64 v14, 0x7f800000, 0, s5
	v_cmp_eq_f32_e64 s2, 0x7f800000, v5
	v_cndmask_b32_e64 v13, 0, v4, s4
	v_bfi_b32 v5, 0x7fffffff, v14, v15
	v_cndmask_b32_e64 v14, 0x7fc00000, v12, s1
	v_cmp_gt_f32_e64 s1, 0, v2
	s_delay_alu instid0(VALU_DEP_4) | instskip(NEXT) | instid1(VALU_DEP_2)
	v_bfi_b32 v13, 0x7fffffff, v27, v13
	v_cndmask_b32_e64 v11, v11, v16, s1
	v_cmp_gt_f32_e64 s1, 0, v4
	s_delay_alu instid0(VALU_DEP_1) | instskip(SKIP_3) | instid1(VALU_DEP_2)
	v_cndmask_b32_e64 v12, v12, v14, s1
	s_or_b32 s1, s5, s2
	s_cmpk_lg_i32 s12, 0x74
	v_cndmask_b32_e64 v5, v11, v5, s1
	v_cndmask_b32_e64 v11, v12, v13, s0
	v_cmp_o_f32_e64 s0, v4, v4
	s_delay_alu instid0(VALU_DEP_3) | instskip(NEXT) | instid1(VALU_DEP_2)
	v_fma_f32 v5, 0x41200000, v5, 1.0
	v_cndmask_b32_e64 v4, 0x7fc00000, v11, s0
	v_cmp_o_f32_e64 s0, v2, v2
	s_delay_alu instid0(VALU_DEP_1) | instskip(NEXT) | instid1(VALU_DEP_1)
	v_cndmask_b32_e64 v2, 0x7fc00000, v5, s0
	v_fmac_f32_e32 v10, v4, v2
	s_cbranch_scc0 .LBB1_21
.LBB1_17:                               ; =>This Inner Loop Header: Depth=1
	s_add_i32 s0, s12, 0x80
                                        ; implicit-def: $vgpr12
	s_mov_b32 s1, exec_lo
	scratch_load_b64 v[4:5], off, s0
	s_waitcnt vmcnt(0)
	v_add_f32_e32 v2, -1.0, v5
	s_delay_alu instid0(VALU_DEP_1) | instskip(NEXT) | instid1(VALU_DEP_1)
	v_fma_f32 v2, 0x3e800000, v2, 1.0
	v_mul_f32_e32 v5, 0x40490e56, v2
                                        ; implicit-def: $vgpr2
	s_delay_alu instid0(VALU_DEP_1)
	v_and_b32_e32 v11, 0x7fffffff, v5
	v_cmpx_ngt_f32_e64 0x48000000, |v5|
	s_xor_b32 s4, exec_lo, s1
	s_cbranch_execz .LBB1_19
; %bb.18:                               ;   in Loop: Header=BB1_17 Depth=1
	s_delay_alu instid0(VALU_DEP_2) | instskip(SKIP_1) | instid1(VALU_DEP_2)
	v_lshrrev_b32_e32 v17, 23, v11
	v_and_or_b32 v20, v11, s13, 0x800000
	v_add_nc_u32_e32 v18, 0xffffff88, v17
	s_delay_alu instid0(VALU_DEP_2) | instskip(NEXT) | instid1(VALU_DEP_2)
	v_mad_u64_u32 v[12:13], null, 0xfe5163ab, v20, 0
	v_cmp_lt_u32_e64 s0, 63, v18
	s_delay_alu instid0(VALU_DEP_1) | instskip(NEXT) | instid1(VALU_DEP_1)
	v_cndmask_b32_e64 v19, 0, 0xffffffc0, s0
	v_dual_mov_b32 v2, v13 :: v_dual_add_nc_u32 v19, v19, v18
	s_delay_alu instid0(VALU_DEP_1) | instskip(NEXT) | instid1(VALU_DEP_2)
	v_mad_u64_u32 v[13:14], null, 0x3c439041, v20, v[2:3]
	v_cmp_lt_u32_e64 s1, 31, v19
	s_delay_alu instid0(VALU_DEP_1) | instskip(NEXT) | instid1(VALU_DEP_1)
	v_cndmask_b32_e64 v21, 0, 0xffffffe0, s1
	v_dual_mov_b32 v2, v14 :: v_dual_add_nc_u32 v21, v21, v19
	s_delay_alu instid0(VALU_DEP_1) | instskip(NEXT) | instid1(VALU_DEP_2)
	v_mad_u64_u32 v[14:15], null, 0xdb629599, v20, v[2:3]
	v_cmp_lt_u32_e64 s2, 31, v21
	s_delay_alu instid0(VALU_DEP_2) | instskip(NEXT) | instid1(VALU_DEP_3)
	v_mov_b32_e32 v2, v15
	v_cndmask_b32_e64 v12, v14, v12, s0
	s_delay_alu instid0(VALU_DEP_2) | instskip(NEXT) | instid1(VALU_DEP_1)
	v_mad_u64_u32 v[15:16], null, 0xf534ddc0, v20, v[2:3]
	v_mov_b32_e32 v2, v16
	s_delay_alu instid0(VALU_DEP_2) | instskip(NEXT) | instid1(VALU_DEP_2)
	v_cndmask_b32_e64 v13, v15, v13, s0
	v_mad_u64_u32 v[16:17], null, 0xfc2757d1, v20, v[2:3]
	s_delay_alu instid0(VALU_DEP_2) | instskip(NEXT) | instid1(VALU_DEP_2)
	v_cndmask_b32_e64 v12, v13, v12, s1
	v_mov_b32_e32 v2, v17
	s_delay_alu instid0(VALU_DEP_1) | instskip(NEXT) | instid1(VALU_DEP_1)
	v_mad_u64_u32 v[17:18], null, 0x4e441529, v20, v[2:3]
	v_mov_b32_e32 v2, v18
	s_delay_alu instid0(VALU_DEP_1) | instskip(SKIP_1) | instid1(VALU_DEP_4)
	v_mad_u64_u32 v[18:19], null, 0xa2f9836e, v20, v[2:3]
	v_cndmask_b32_e64 v2, 0, 0xffffffe0, s2
	v_cndmask_b32_e64 v20, v17, v15, s0
	s_delay_alu instid0(VALU_DEP_2) | instskip(NEXT) | instid1(VALU_DEP_4)
	v_add_nc_u32_e32 v2, v2, v21
	v_cndmask_b32_e64 v18, v18, v16, s0
	v_cndmask_b32_e64 v17, v19, v17, s0
	;; [unrolled: 1-line block ×3, first 2 shown]
	s_delay_alu instid0(VALU_DEP_4) | instskip(NEXT) | instid1(VALU_DEP_4)
	v_sub_nc_u32_e32 v19, 32, v2
	v_cndmask_b32_e64 v15, v18, v20, s1
	s_delay_alu instid0(VALU_DEP_4) | instskip(NEXT) | instid1(VALU_DEP_4)
	v_cndmask_b32_e64 v17, v17, v18, s1
	v_cndmask_b32_e64 v18, v20, v16, s1
	;; [unrolled: 1-line block ×3, first 2 shown]
	v_cmp_eq_u32_e64 s3, 0, v2
	s_delay_alu instid0(VALU_DEP_4) | instskip(NEXT) | instid1(VALU_DEP_4)
	v_cndmask_b32_e64 v17, v17, v15, s2
	v_cndmask_b32_e64 v15, v15, v18, s2
	s_delay_alu instid0(VALU_DEP_4) | instskip(SKIP_1) | instid1(VALU_DEP_3)
	v_cndmask_b32_e64 v18, v18, v16, s2
	v_cndmask_b32_e64 v12, v16, v12, s2
	v_alignbit_b32 v20, v17, v15, v19
	s_delay_alu instid0(VALU_DEP_3) | instskip(NEXT) | instid1(VALU_DEP_3)
	v_alignbit_b32 v21, v15, v18, v19
	v_alignbit_b32 v19, v18, v12, v19
	s_delay_alu instid0(VALU_DEP_3) | instskip(NEXT) | instid1(VALU_DEP_3)
	v_cndmask_b32_e64 v2, v20, v17, s3
	v_cndmask_b32_e64 v14, v21, v15, s3
	s_delay_alu instid0(VALU_DEP_3) | instskip(NEXT) | instid1(VALU_DEP_3)
	v_cndmask_b32_e64 v18, v19, v18, s3
	v_bfe_u32 v15, v2, 29, 1
	s_delay_alu instid0(VALU_DEP_3) | instskip(NEXT) | instid1(VALU_DEP_3)
	v_alignbit_b32 v13, v2, v14, 30
	v_alignbit_b32 v14, v14, v18, 30
	;; [unrolled: 1-line block ×3, first 2 shown]
	s_delay_alu instid0(VALU_DEP_4) | instskip(NEXT) | instid1(VALU_DEP_1)
	v_sub_nc_u32_e32 v17, 0, v15
	v_xor_b32_e32 v16, v13, v17
	v_cmp_ne_u32_e64 s0, v13, v17
	v_xor_b32_e32 v14, v14, v17
	v_xor_b32_e32 v12, v12, v17
	s_delay_alu instid0(VALU_DEP_4) | instskip(NEXT) | instid1(VALU_DEP_1)
	v_clz_i32_u32_e32 v20, v16
	v_add_nc_u32_e32 v19, 1, v20
	s_delay_alu instid0(VALU_DEP_1) | instskip(NEXT) | instid1(VALU_DEP_1)
	v_cndmask_b32_e64 v13, 33, v19, s0
	v_sub_nc_u32_e32 v18, 32, v13
	s_delay_alu instid0(VALU_DEP_1) | instskip(SKIP_2) | instid1(VALU_DEP_2)
	v_alignbit_b32 v16, v16, v14, v18
	v_alignbit_b32 v12, v14, v12, v18
	v_lshrrev_b32_e32 v14, 29, v2
	v_alignbit_b32 v17, v16, v12, 9
	s_delay_alu instid0(VALU_DEP_2) | instskip(SKIP_1) | instid1(VALU_DEP_3)
	v_lshlrev_b32_e32 v14, 31, v14
	v_alignbit_b32 v16, v13, v16, 9
	v_clz_i32_u32_e32 v18, v17
	s_delay_alu instid0(VALU_DEP_2) | instskip(SKIP_1) | instid1(VALU_DEP_3)
	v_or_b32_e32 v16, v16, v14
	v_or_b32_e32 v14, 0x33800000, v14
	v_min_u32_e32 v18, 32, v18
	s_delay_alu instid0(VALU_DEP_3) | instskip(NEXT) | instid1(VALU_DEP_2)
	v_xor_b32_e32 v16, 1.0, v16
	v_sub_nc_u32_e32 v19, 31, v18
	v_add_lshl_u32 v13, v18, v13, 23
	s_delay_alu instid0(VALU_DEP_3) | instskip(NEXT) | instid1(VALU_DEP_3)
	v_mul_f32_e32 v18, 0x3fc90fda, v16
	v_alignbit_b32 v12, v17, v12, v19
	s_delay_alu instid0(VALU_DEP_3) | instskip(NEXT) | instid1(VALU_DEP_3)
	v_sub_nc_u32_e32 v13, v14, v13
	v_fma_f32 v14, 0x3fc90fda, v16, -v18
	s_delay_alu instid0(VALU_DEP_3) | instskip(NEXT) | instid1(VALU_DEP_2)
	v_lshrrev_b32_e32 v12, 9, v12
	v_fmac_f32_e32 v14, 0x33a22168, v16
	s_delay_alu instid0(VALU_DEP_2) | instskip(NEXT) | instid1(VALU_DEP_1)
	v_or_b32_e32 v12, v13, v12
	v_fmac_f32_e32 v14, 0x3fc90fda, v12
	v_lshrrev_b32_e32 v12, 30, v2
	s_delay_alu instid0(VALU_DEP_2) | instskip(NEXT) | instid1(VALU_DEP_2)
	v_add_f32_e32 v2, v18, v14
	v_add_nc_u32_e32 v12, v15, v12
.LBB1_19:                               ;   in Loop: Header=BB1_17 Depth=1
	s_and_not1_saveexec_b32 s0, s4
	s_cbranch_execz .LBB1_16
; %bb.20:                               ;   in Loop: Header=BB1_17 Depth=1
	v_mul_f32_e64 v2, 0x3f22f983, |v5|
	s_delay_alu instid0(VALU_DEP_1) | instskip(NEXT) | instid1(VALU_DEP_1)
	v_rndne_f32_e32 v12, v2
	v_fma_f32 v2, 0xbfc90fda, v12, |v5|
	s_delay_alu instid0(VALU_DEP_1) | instskip(NEXT) | instid1(VALU_DEP_1)
	v_fmac_f32_e32 v2, 0xb3a22168, v12
	v_fmac_f32_e32 v2, 0xa7c234c4, v12
	v_cvt_i32_f32_e32 v12, v12
	s_branch .LBB1_16
.LBB1_21:
	s_delay_alu instid0(VALU_DEP_1) | instskip(NEXT) | instid1(VALU_DEP_1)
	v_cmp_lt_f32_e64 s0, v9, v10
	s_and_b32 exec_lo, exec_lo, s0
	s_cbranch_execz .LBB1_212
; %bb.22:
	s_clause 0x7
	scratch_load_b128 v[2:5], off, off
	scratch_load_b128 v[9:12], off, off offset:16
	scratch_load_b128 v[13:16], off, off offset:32
	;; [unrolled: 1-line block ×6, first 2 shown]
	scratch_load_b64 v[33:34], off, off offset:112
	s_waitcnt vmcnt(7)
	global_store_b128 v[0:1], v[2:5], off
	s_waitcnt vmcnt(6)
	global_store_b128 v[0:1], v[9:12], off offset:16
	s_waitcnt vmcnt(5)
	global_store_b128 v[0:1], v[13:16], off offset:32
	;; [unrolled: 2-line block ×6, first 2 shown]
	s_waitcnt vmcnt(0)
	global_store_b64 v[0:1], v[33:34], off offset:112
                                        ; implicit-def: $vgpr1
                                        ; implicit-def: $vgpr0
	s_and_saveexec_b32 s0, s8
	s_delay_alu instid0(SALU_CYCLE_1)
	s_xor_b32 s4, exec_lo, s0
	s_cbranch_execz .LBB1_24
; %bb.23:
	s_mov_b32 s0, 0x7fffff
	v_mov_b32_e32 v2, 0
	v_and_or_b32 v14, v7, s0, 0x800000
	s_delay_alu instid0(VALU_DEP_1) | instskip(NEXT) | instid1(VALU_DEP_1)
	v_mad_u64_u32 v[0:1], null, 0xfe5163ab, v14, 0
	v_mad_u64_u32 v[3:4], null, 0x3c439041, v14, v[1:2]
	s_delay_alu instid0(VALU_DEP_1) | instskip(NEXT) | instid1(VALU_DEP_1)
	v_mov_b32_e32 v1, v4
	v_mad_u64_u32 v[4:5], null, 0xdb629599, v14, v[1:2]
	s_delay_alu instid0(VALU_DEP_1) | instskip(SKIP_1) | instid1(VALU_DEP_2)
	v_mov_b32_e32 v1, v5
	v_lshrrev_b32_e32 v5, 23, v7
	v_mad_u64_u32 v[9:10], null, 0xf534ddc0, v14, v[1:2]
	s_delay_alu instid0(VALU_DEP_2) | instskip(NEXT) | instid1(VALU_DEP_1)
	v_add_nc_u32_e32 v5, 0xffffff88, v5
	v_cmp_lt_u32_e64 s0, 63, v5
	s_delay_alu instid0(VALU_DEP_3) | instskip(NEXT) | instid1(VALU_DEP_2)
	v_mov_b32_e32 v1, v10
	v_cndmask_b32_e64 v12, 0, 0xffffffc0, s0
	s_delay_alu instid0(VALU_DEP_2) | instskip(SKIP_2) | instid1(VALU_DEP_4)
	v_mad_u64_u32 v[10:11], null, 0xfc2757d1, v14, v[1:2]
	v_cndmask_b32_e64 v3, v9, v3, s0
	v_cndmask_b32_e64 v0, v4, v0, s0
	v_add_nc_u32_e32 v5, v12, v5
	s_delay_alu instid0(VALU_DEP_4) | instskip(NEXT) | instid1(VALU_DEP_2)
	v_mov_b32_e32 v1, v11
	v_cmp_lt_u32_e64 s1, 31, v5
	s_delay_alu instid0(VALU_DEP_2) | instskip(NEXT) | instid1(VALU_DEP_2)
	v_mad_u64_u32 v[11:12], null, 0x4e441529, v14, v[1:2]
	v_cndmask_b32_e64 v13, 0, 0xffffffe0, s1
	v_cndmask_b32_e64 v0, v3, v0, s1
	s_delay_alu instid0(VALU_DEP_2) | instskip(NEXT) | instid1(VALU_DEP_4)
	v_add_nc_u32_e32 v5, v13, v5
	v_mov_b32_e32 v1, v12
	s_delay_alu instid0(VALU_DEP_2) | instskip(NEXT) | instid1(VALU_DEP_2)
	v_cmp_lt_u32_e64 s2, 31, v5
	v_mad_u64_u32 v[12:13], null, 0xa2f9836e, v14, v[1:2]
	v_cndmask_b32_e64 v2, v11, v9, s0
	s_delay_alu instid0(VALU_DEP_3) | instskip(NEXT) | instid1(VALU_DEP_3)
	v_cndmask_b32_e64 v1, 0, 0xffffffe0, s2
	v_cndmask_b32_e64 v12, v12, v10, s0
	s_delay_alu instid0(VALU_DEP_4) | instskip(SKIP_1) | instid1(VALU_DEP_4)
	v_cndmask_b32_e64 v11, v13, v11, s0
	v_cndmask_b32_e64 v10, v10, v4, s0
	v_add_nc_u32_e32 v1, v1, v5
	s_delay_alu instid0(VALU_DEP_4) | instskip(NEXT) | instid1(VALU_DEP_4)
	v_cndmask_b32_e64 v5, v12, v2, s1
	v_cndmask_b32_e64 v9, v11, v12, s1
	s_delay_alu instid0(VALU_DEP_4) | instskip(NEXT) | instid1(VALU_DEP_4)
	v_cndmask_b32_e64 v2, v2, v10, s1
	v_sub_nc_u32_e32 v11, 32, v1
	v_cndmask_b32_e64 v10, v10, v3, s1
	v_cmp_eq_u32_e64 s3, 0, v1
	v_cndmask_b32_e64 v9, v9, v5, s2
	v_cndmask_b32_e64 v5, v5, v2, s2
	s_delay_alu instid0(VALU_DEP_4) | instskip(SKIP_1) | instid1(VALU_DEP_3)
	v_cndmask_b32_e64 v2, v2, v10, s2
	v_cndmask_b32_e64 v0, v10, v0, s2
	v_alignbit_b32 v12, v9, v5, v11
	s_delay_alu instid0(VALU_DEP_3) | instskip(NEXT) | instid1(VALU_DEP_3)
	v_alignbit_b32 v13, v5, v2, v11
	v_alignbit_b32 v11, v2, v0, v11
	s_delay_alu instid0(VALU_DEP_3) | instskip(NEXT) | instid1(VALU_DEP_3)
	v_cndmask_b32_e64 v1, v12, v9, s3
	v_cndmask_b32_e64 v4, v13, v5, s3
	s_delay_alu instid0(VALU_DEP_3) | instskip(NEXT) | instid1(VALU_DEP_3)
	v_cndmask_b32_e64 v2, v11, v2, s3
	v_bfe_u32 v5, v1, 29, 1
	s_delay_alu instid0(VALU_DEP_3) | instskip(NEXT) | instid1(VALU_DEP_3)
	v_alignbit_b32 v3, v1, v4, 30
	v_alignbit_b32 v4, v4, v2, 30
	;; [unrolled: 1-line block ×3, first 2 shown]
	s_delay_alu instid0(VALU_DEP_4) | instskip(NEXT) | instid1(VALU_DEP_1)
	v_sub_nc_u32_e32 v9, 0, v5
	v_xor_b32_e32 v10, v3, v9
	v_cmp_ne_u32_e64 s0, v3, v9
	v_xor_b32_e32 v2, v4, v9
	v_xor_b32_e32 v0, v0, v9
	s_delay_alu instid0(VALU_DEP_4) | instskip(NEXT) | instid1(VALU_DEP_1)
	v_clz_i32_u32_e32 v12, v10
	v_add_nc_u32_e32 v11, 1, v12
	s_delay_alu instid0(VALU_DEP_1) | instskip(NEXT) | instid1(VALU_DEP_1)
	v_cndmask_b32_e64 v3, 33, v11, s0
	v_sub_nc_u32_e32 v4, 32, v3
	s_delay_alu instid0(VALU_DEP_1) | instskip(SKIP_3) | instid1(VALU_DEP_3)
	v_alignbit_b32 v9, v10, v2, v4
	v_alignbit_b32 v0, v2, v0, v4
	v_lshrrev_b32_e32 v2, 29, v1
	v_lshrrev_b32_e32 v1, 30, v1
	v_alignbit_b32 v4, v9, v0, 9
	s_delay_alu instid0(VALU_DEP_3) | instskip(SKIP_1) | instid1(VALU_DEP_4)
	v_lshlrev_b32_e32 v2, 31, v2
	v_alignbit_b32 v9, v3, v9, 9
	v_add_nc_u32_e32 v1, v5, v1
	s_delay_alu instid0(VALU_DEP_4) | instskip(NEXT) | instid1(VALU_DEP_3)
	v_clz_i32_u32_e32 v10, v4
	v_or_b32_e32 v9, v9, v2
	v_or_b32_e32 v2, 0x33800000, v2
	s_delay_alu instid0(VALU_DEP_3) | instskip(NEXT) | instid1(VALU_DEP_3)
	v_min_u32_e32 v10, 32, v10
	v_xor_b32_e32 v9, 1.0, v9
	s_delay_alu instid0(VALU_DEP_2) | instskip(SKIP_1) | instid1(VALU_DEP_3)
	v_sub_nc_u32_e32 v11, 31, v10
	v_add_lshl_u32 v3, v10, v3, 23
	v_mul_f32_e32 v10, 0x3fc90fda, v9
	s_delay_alu instid0(VALU_DEP_3) | instskip(NEXT) | instid1(VALU_DEP_3)
	v_alignbit_b32 v0, v4, v0, v11
	v_sub_nc_u32_e32 v2, v2, v3
	s_delay_alu instid0(VALU_DEP_3) | instskip(NEXT) | instid1(VALU_DEP_3)
	v_fma_f32 v3, 0x3fc90fda, v9, -v10
	v_lshrrev_b32_e32 v0, 9, v0
	s_delay_alu instid0(VALU_DEP_2) | instskip(NEXT) | instid1(VALU_DEP_2)
	v_fmamk_f32 v3, v9, 0x33a22168, v3
	v_or_b32_e32 v0, v2, v0
	s_delay_alu instid0(VALU_DEP_1) | instskip(NEXT) | instid1(VALU_DEP_1)
	v_fmac_f32_e32 v3, 0x3fc90fda, v0
	v_add_f32_e32 v0, v10, v3
.LBB1_24:
	s_and_not1_saveexec_b32 s0, s4
; %bb.25:
	v_mul_f32_e64 v0, 0x3f22f983, |v6|
	s_delay_alu instid0(VALU_DEP_1) | instskip(NEXT) | instid1(VALU_DEP_1)
	v_rndne_f32_e32 v1, v0
	v_fma_f32 v0, 0xbfc90fda, v1, |v6|
	s_delay_alu instid0(VALU_DEP_1) | instskip(NEXT) | instid1(VALU_DEP_1)
	v_fmamk_f32 v0, v1, 0xb3a22168, v0
	v_fmamk_f32 v0, v1, 0xa7c234c4, v0
	v_cvt_i32_f32_e32 v1, v1
; %bb.26:
	s_or_b32 exec_lo, exec_lo, s0
	s_delay_alu instid0(VALU_DEP_1) | instskip(SKIP_3) | instid1(VALU_DEP_1)
	v_dual_mul_f32 v2, v0, v0 :: v_dual_lshlrev_b32 v5, 30, v1
	s_mov_b32 s5, 0xb94c1982
	s_mov_b32 s8, 0x37d75334
	;; [unrolled: 1-line block ×3, first 2 shown]
	v_fmaak_f32 v3, s5, v2, 0x3c0881c4
	s_mov_b32 s10, 0
	s_mov_b32 s11, 0x7fffff
	v_and_b32_e32 v1, 1, v1
	s_delay_alu instid0(VALU_DEP_2) | instskip(SKIP_1) | instid1(VALU_DEP_3)
	v_fmaak_f32 v3, v2, v3, 0xbe2aaa9d
	v_fmaak_f32 v4, s8, v2, 0xbab64f3b
	v_cmp_eq_u32_e64 s0, 0, v1
	s_delay_alu instid0(VALU_DEP_3) | instskip(NEXT) | instid1(VALU_DEP_3)
	v_mul_f32_e32 v3, v2, v3
	v_fmaak_f32 v4, v2, v4, 0x3d2aabf7
	s_delay_alu instid0(VALU_DEP_2) | instskip(NEXT) | instid1(VALU_DEP_2)
	v_dual_fmac_f32 v0, v0, v3 :: v_dual_and_b32 v5, 0x80000000, v5
	v_fmaak_f32 v4, v2, v4, 0xbf000004
	s_delay_alu instid0(VALU_DEP_2) | instskip(NEXT) | instid1(VALU_DEP_2)
	v_xor_b32_e32 v3, v7, v5
	v_fma_f32 v2, v2, v4, 1.0
	s_delay_alu instid0(VALU_DEP_1) | instskip(NEXT) | instid1(VALU_DEP_1)
	v_cndmask_b32_e64 v0, v2, v0, s0
	v_xor3_b32 v2, v3, v0, v6
	s_delay_alu instid0(VALU_DEP_1) | instskip(NEXT) | instid1(VALU_DEP_1)
	v_cndmask_b32_e64 v3, 0x7fc00000, |v2|, vcc_lo
	v_frexp_mant_f32_e32 v0, v3
	s_delay_alu instid0(VALU_DEP_1) | instskip(NEXT) | instid1(VALU_DEP_1)
	v_cmp_gt_f32_e64 s0, 0x3f2aaaab, v0
	v_cndmask_b32_e64 v1, 1.0, 2.0, s0
	s_delay_alu instid0(VALU_DEP_1) | instskip(NEXT) | instid1(VALU_DEP_1)
	v_mul_f32_e32 v0, v0, v1
	v_add_f32_e32 v1, 1.0, v0
	v_add_f32_e32 v5, -1.0, v0
	s_delay_alu instid0(VALU_DEP_2) | instskip(NEXT) | instid1(VALU_DEP_1)
	v_add_f32_e32 v7, -1.0, v1
	v_sub_f32_e32 v0, v0, v7
	v_rcp_f32_e32 v4, v1
	s_waitcnt_depctr 0xfff
	v_mul_f32_e32 v6, v5, v4
	s_delay_alu instid0(VALU_DEP_1) | instskip(NEXT) | instid1(VALU_DEP_1)
	v_mul_f32_e32 v9, v1, v6
	v_fma_f32 v1, v6, v1, -v9
	s_delay_alu instid0(VALU_DEP_1) | instskip(NEXT) | instid1(VALU_DEP_1)
	v_fmac_f32_e32 v1, v6, v0
	v_add_f32_e32 v0, v9, v1
	s_delay_alu instid0(VALU_DEP_1) | instskip(NEXT) | instid1(VALU_DEP_1)
	v_sub_f32_e32 v7, v5, v0
	v_sub_f32_e32 v5, v5, v7
	s_delay_alu instid0(VALU_DEP_1) | instskip(NEXT) | instid1(VALU_DEP_1)
	v_dual_sub_f32 v9, v0, v9 :: v_dual_sub_f32 v0, v5, v0
	v_sub_f32_e32 v1, v9, v1
	s_delay_alu instid0(VALU_DEP_1) | instskip(NEXT) | instid1(VALU_DEP_1)
	v_add_f32_e32 v0, v1, v0
	v_add_f32_e32 v0, v7, v0
	s_delay_alu instid0(VALU_DEP_1) | instskip(NEXT) | instid1(VALU_DEP_1)
	v_mul_f32_e32 v0, v4, v0
	v_add_f32_e32 v4, v6, v0
	s_delay_alu instid0(VALU_DEP_1) | instskip(NEXT) | instid1(VALU_DEP_1)
	v_sub_f32_e32 v1, v4, v6
	v_sub_f32_e32 v6, v0, v1
	s_delay_alu instid0(VALU_DEP_1) | instskip(NEXT) | instid1(VALU_DEP_1)
	v_dual_mul_f32 v5, v4, v4 :: v_dual_add_f32 v0, v6, v6
	v_fma_f32 v7, v4, v4, -v5
	s_delay_alu instid0(VALU_DEP_1) | instskip(SKIP_1) | instid1(VALU_DEP_2)
	v_fmac_f32_e32 v7, v4, v0
	v_cvt_f64_f32_e32 v[0:1], v3
	v_add_f32_e32 v9, v5, v7
	s_delay_alu instid0(VALU_DEP_1) | instskip(NEXT) | instid1(VALU_DEP_1)
	v_fmaak_f32 v10, s9, v9, 0x3e91f4c4
	v_fmaak_f32 v10, v9, v10, 0x3ecccdef
	s_delay_alu instid0(VALU_DEP_1) | instskip(SKIP_2) | instid1(VALU_DEP_1)
	v_mul_f32_e32 v11, v9, v10
	v_sub_f32_e32 v5, v9, v5
	v_frexp_exp_i32_f64_e32 v0, v[0:1]
	v_subrev_co_ci_u32_e64 v0, s0, 0, v0, s0
	s_delay_alu instid0(VALU_DEP_1) | instskip(NEXT) | instid1(VALU_DEP_4)
	v_cvt_f32_i32_e32 v0, v0
	v_sub_f32_e32 v5, v7, v5
	v_fma_f32 v7, v9, v10, -v11
	s_delay_alu instid0(VALU_DEP_1) | instskip(NEXT) | instid1(VALU_DEP_1)
	v_fmac_f32_e32 v7, v5, v10
	v_add_f32_e32 v10, v11, v7
	s_delay_alu instid0(VALU_DEP_1) | instskip(SKIP_1) | instid1(VALU_DEP_1)
	v_dual_add_f32 v12, 0x3f2aaaaa, v10 :: v_dual_mul_f32 v13, v4, v9
	v_sub_f32_e32 v11, v10, v11
	v_sub_f32_e32 v1, v7, v11
	s_delay_alu instid0(VALU_DEP_3) | instskip(NEXT) | instid1(VALU_DEP_4)
	v_add_f32_e32 v7, 0xbf2aaaaa, v12
	v_fma_f32 v11, v9, v4, -v13
	s_delay_alu instid0(VALU_DEP_3) | instskip(NEXT) | instid1(VALU_DEP_3)
	v_add_f32_e32 v1, 0x31739010, v1
	v_sub_f32_e32 v7, v10, v7
	s_delay_alu instid0(VALU_DEP_3) | instskip(SKIP_1) | instid1(VALU_DEP_3)
	v_fmac_f32_e32 v11, v9, v6
	v_ldexp_f32 v6, v6, 1
	v_add_f32_e32 v1, v1, v7
	s_delay_alu instid0(VALU_DEP_3) | instskip(NEXT) | instid1(VALU_DEP_2)
	v_fmac_f32_e32 v11, v5, v4
	v_add_f32_e32 v5, v12, v1
	s_delay_alu instid0(VALU_DEP_2) | instskip(NEXT) | instid1(VALU_DEP_2)
	v_add_f32_e32 v7, v13, v11
	v_sub_f32_e32 v9, v12, v5
	s_delay_alu instid0(VALU_DEP_2) | instskip(SKIP_1) | instid1(VALU_DEP_3)
	v_mul_f32_e32 v10, v7, v5
	v_sub_f32_e32 v12, v7, v13
	v_add_f32_e32 v1, v1, v9
	s_delay_alu instid0(VALU_DEP_3) | instskip(NEXT) | instid1(VALU_DEP_3)
	v_fma_f32 v9, v7, v5, -v10
	v_sub_f32_e32 v11, v11, v12
	s_delay_alu instid0(VALU_DEP_2) | instskip(SKIP_1) | instid1(VALU_DEP_2)
	v_fmac_f32_e32 v9, v7, v1
	v_ldexp_f32 v1, v4, 1
	v_fmac_f32_e32 v9, v11, v5
	s_delay_alu instid0(VALU_DEP_1) | instskip(NEXT) | instid1(VALU_DEP_1)
	v_add_f32_e32 v4, v10, v9
	v_add_f32_e32 v5, v1, v4
	v_dual_sub_f32 v7, v4, v10 :: v_dual_mul_f32 v10, 0x3f317218, v0
	s_delay_alu instid0(VALU_DEP_2) | instskip(NEXT) | instid1(VALU_DEP_2)
	v_sub_f32_e32 v1, v5, v1
	v_sub_f32_e32 v7, v9, v7
	s_delay_alu instid0(VALU_DEP_3) | instskip(NEXT) | instid1(VALU_DEP_2)
	v_fma_f32 v9, 0x3f317218, v0, -v10
	v_dual_sub_f32 v1, v4, v1 :: v_dual_add_f32 v4, v6, v7
	s_delay_alu instid0(VALU_DEP_1) | instskip(NEXT) | instid1(VALU_DEP_1)
	v_dual_fmac_f32 v9, 0xb102e308, v0 :: v_dual_add_f32 v0, v4, v1
	v_dual_add_f32 v1, v10, v9 :: v_dual_add_f32 v4, v5, v0
	s_delay_alu instid0(VALU_DEP_1) | instskip(NEXT) | instid1(VALU_DEP_2)
	v_sub_f32_e32 v10, v1, v10
	v_dual_add_f32 v6, v1, v4 :: v_dual_sub_f32 v5, v4, v5
	s_delay_alu instid0(VALU_DEP_2) | instskip(NEXT) | instid1(VALU_DEP_2)
	v_sub_f32_e32 v9, v9, v10
	v_sub_f32_e32 v7, v6, v1
	s_delay_alu instid0(VALU_DEP_1) | instskip(NEXT) | instid1(VALU_DEP_1)
	v_dual_sub_f32 v0, v0, v5 :: v_dual_sub_f32 v11, v6, v7
	v_dual_sub_f32 v4, v4, v7 :: v_dual_add_f32 v5, v9, v0
	s_delay_alu instid0(VALU_DEP_2) | instskip(NEXT) | instid1(VALU_DEP_1)
	v_sub_f32_e32 v1, v1, v11
	v_add_f32_e32 v1, v4, v1
	s_delay_alu instid0(VALU_DEP_3) | instskip(NEXT) | instid1(VALU_DEP_2)
	v_sub_f32_e32 v4, v5, v9
	v_add_f32_e32 v1, v5, v1
	s_delay_alu instid0(VALU_DEP_2) | instskip(NEXT) | instid1(VALU_DEP_2)
	v_sub_f32_e32 v5, v5, v4
	v_dual_sub_f32 v0, v0, v4 :: v_dual_add_f32 v7, v6, v1
	s_delay_alu instid0(VALU_DEP_1) | instskip(NEXT) | instid1(VALU_DEP_1)
	v_dual_sub_f32 v4, v9, v5 :: v_dual_sub_f32 v5, v7, v6
	v_dual_add_f32 v0, v0, v4 :: v_dual_sub_f32 v1, v1, v5
	s_delay_alu instid0(VALU_DEP_1) | instskip(NEXT) | instid1(VALU_DEP_1)
	v_dual_add_f32 v0, v0, v1 :: v_dual_cndmask_b32 v1, 0x7fc00000, v2
	v_add_f32_e32 v2, v7, v0
	s_delay_alu instid0(VALU_DEP_2) | instskip(NEXT) | instid1(VALU_DEP_2)
	v_cmp_eq_f32_e32 vcc_lo, 1.0, v1
	v_sub_f32_e32 v5, v2, v7
	v_cndmask_b32_e64 v4, 2.0, 1.0, vcc_lo
	s_delay_alu instid0(VALU_DEP_2) | instskip(NEXT) | instid1(VALU_DEP_2)
	v_sub_f32_e32 v0, v0, v5
	v_mul_f32_e32 v6, v4, v2
	s_delay_alu instid0(VALU_DEP_1) | instskip(SKIP_1) | instid1(VALU_DEP_2)
	v_fma_f32 v2, v4, v2, -v6
	v_cmp_class_f32_e64 vcc_lo, v6, 0x204
	v_fmac_f32_e32 v2, v4, v0
	s_delay_alu instid0(VALU_DEP_1) | instskip(NEXT) | instid1(VALU_DEP_1)
	v_add_f32_e32 v0, v6, v2
	v_cndmask_b32_e32 v5, v0, v6, vcc_lo
	v_sub_f32_e32 v0, v0, v6
	s_delay_alu instid0(VALU_DEP_2) | instskip(NEXT) | instid1(VALU_DEP_2)
	v_cmp_eq_f32_e32 vcc_lo, 0x42b17218, v5
	v_sub_f32_e32 v0, v2, v0
	v_cndmask_b32_e64 v7, 0, 0x37000000, vcc_lo
	v_cmp_neq_f32_e64 vcc_lo, 0x7f800000, |v5|
	s_delay_alu instid0(VALU_DEP_2) | instskip(SKIP_1) | instid1(VALU_DEP_2)
	v_dual_sub_f32 v9, v5, v7 :: v_dual_cndmask_b32 v0, 0, v0
	v_trunc_f32_e32 v5, v4
	v_mul_f32_e32 v10, 0x3fb8aa3b, v9
	v_cmp_ngt_f32_e32 vcc_lo, 0xc2ce8ed0, v9
	s_delay_alu instid0(VALU_DEP_4) | instskip(NEXT) | instid1(VALU_DEP_3)
	v_add_f32_e32 v0, v7, v0
	v_fma_f32 v11, 0x3fb8aa3b, v9, -v10
	v_rndne_f32_e32 v12, v10
	s_delay_alu instid0(VALU_DEP_1) | instskip(SKIP_1) | instid1(VALU_DEP_2)
	v_dual_fmac_f32 v11, 0x32a5705f, v9 :: v_dual_sub_f32 v10, v10, v12
	v_cvt_i32_f32_e32 v6, v12
	v_add_f32_e32 v10, v10, v11
	s_delay_alu instid0(VALU_DEP_1) | instskip(SKIP_3) | instid1(VALU_DEP_2)
	v_exp_f32_e32 v10, v10
	s_waitcnt_depctr 0xfff
	v_ldexp_f32 v2, v10, v6
	v_mul_f32_e32 v6, 0.5, v4
	v_cndmask_b32_e32 v2, 0, v2, vcc_lo
	v_cmp_nlt_f32_e32 vcc_lo, 0x42b17218, v9
	s_delay_alu instid0(VALU_DEP_3) | instskip(NEXT) | instid1(VALU_DEP_3)
	v_trunc_f32_e32 v10, v6
	v_cndmask_b32_e32 v2, 0x7f800000, v2, vcc_lo
	v_cmp_eq_f32_e32 vcc_lo, v5, v4
	s_delay_alu instid0(VALU_DEP_3) | instskip(NEXT) | instid1(VALU_DEP_3)
	v_cmp_neq_f32_e64 s0, v10, v6
	v_fma_f32 v0, v2, v0, v2
	v_cmp_class_f32_e64 s1, v2, 0x204
	s_delay_alu instid0(VALU_DEP_3) | instskip(NEXT) | instid1(SALU_CYCLE_1)
	s_and_b32 s0, vcc_lo, s0
	v_cndmask_b32_e64 v4, 1.0, v1, s0
	s_delay_alu instid0(VALU_DEP_2) | instskip(SKIP_1) | instid1(VALU_DEP_2)
	v_cndmask_b32_e64 v0, v0, v2, s1
	v_cmp_eq_f32_e64 s1, 0, v1
	v_bfi_b32 v0, 0x7fffffff, v0, v4
	s_delay_alu instid0(VALU_DEP_2) | instskip(SKIP_2) | instid1(VALU_DEP_4)
	v_cndmask_b32_e64 v2, 0x7f800000, 0, s1
	v_cndmask_b32_e64 v4, 0, v1, s0
	v_cmp_gt_f32_e64 s0, 0, v1
	v_cndmask_b32_e32 v5, 0x7fc00000, v0, vcc_lo
	v_cmp_eq_f32_e32 vcc_lo, 0x7f800000, v3
	s_delay_alu instid0(VALU_DEP_4) | instskip(NEXT) | instid1(VALU_DEP_3)
	v_bfi_b32 v2, 0x7fffffff, v2, v4
	v_cndmask_b32_e64 v0, v0, v5, s0
	s_or_b32 vcc_lo, s1, vcc_lo
	s_delay_alu instid0(VALU_DEP_1) | instskip(SKIP_1) | instid1(VALU_DEP_2)
	v_cndmask_b32_e32 v0, v0, v2, vcc_lo
	v_cmp_o_f32_e32 vcc_lo, v1, v1
	v_dual_mov_b32 v1, 0 :: v_dual_cndmask_b32 v0, 0x7fc00000, v0
	s_delay_alu instid0(VALU_DEP_1)
	v_add_f32_e32 v4, v8, v0
	s_branch .LBB1_28
.LBB1_27:                               ;   in Loop: Header=BB1_28 Depth=1
	s_or_b32 exec_lo, exec_lo, s0
	s_delay_alu instid0(VALU_DEP_1) | instskip(SKIP_3) | instid1(VALU_DEP_3)
	v_dual_mul_f32 v7, v0, v0 :: v_dual_and_b32 v10, 1, v6
	v_xor_b32_e32 v5, v5, v3
	v_add_f32_e32 v2, -1.0, v2
	s_add_i32 s10, s10, 4
	v_fmaak_f32 v8, s5, v7, 0x3c0881c4
	v_cmp_eq_u32_e32 vcc_lo, 0, v10
	v_lshlrev_b32_e32 v6, 30, v6
	v_fma_f32 v2, 0x3e800000, v2, 1.0
	s_delay_alu instid0(VALU_DEP_4) | instskip(SKIP_1) | instid1(VALU_DEP_4)
	v_fmaak_f32 v8, v7, v8, 0xbe2aaa9d
	v_fmaak_f32 v9, s8, v7, 0xbab64f3b
	v_and_b32_e32 v6, 0x80000000, v6
	s_delay_alu instid0(VALU_DEP_3) | instskip(NEXT) | instid1(VALU_DEP_1)
	v_mul_f32_e32 v8, v7, v8
	v_dual_fmaak_f32 v9, v7, v9, 0x3d2aabf7 :: v_dual_fmac_f32 v0, v0, v8
	s_delay_alu instid0(VALU_DEP_1) | instskip(NEXT) | instid1(VALU_DEP_1)
	v_fmaak_f32 v9, v7, v9, 0xbf000004
	v_fma_f32 v7, v7, v9, 1.0
	s_delay_alu instid0(VALU_DEP_1) | instskip(SKIP_1) | instid1(VALU_DEP_2)
	v_cndmask_b32_e32 v0, v7, v0, vcc_lo
	v_cmp_class_f32_e64 vcc_lo, v3, 0x1f8
	v_xor3_b32 v5, v5, v6, v0
	s_delay_alu instid0(VALU_DEP_1) | instskip(SKIP_1) | instid1(VALU_DEP_2)
	v_cndmask_b32_e64 v3, 0x7fc00000, |v5|, vcc_lo
	v_cndmask_b32_e32 v0, 0x7fc00000, v5, vcc_lo
	v_frexp_mant_f32_e32 v6, v3
	s_delay_alu instid0(VALU_DEP_1) | instskip(NEXT) | instid1(VALU_DEP_1)
	v_cmp_gt_f32_e64 s0, 0x3f2aaaab, v6
	v_cndmask_b32_e64 v8, 1.0, 2.0, s0
	s_delay_alu instid0(VALU_DEP_1) | instskip(NEXT) | instid1(VALU_DEP_1)
	v_mul_f32_e32 v6, v6, v8
	v_add_f32_e32 v8, 1.0, v6
	s_delay_alu instid0(VALU_DEP_1) | instskip(NEXT) | instid1(VALU_DEP_1)
	v_dual_add_f32 v2, -1.0, v2 :: v_dual_add_f32 v17, -1.0, v8
	v_frexp_mant_f32_e64 v5, |v2|
	v_cmp_class_f32_e64 s12, v2, 0x204
	s_delay_alu instid0(VALU_DEP_2) | instskip(SKIP_1) | instid1(VALU_DEP_1)
	v_cmp_gt_f32_e32 vcc_lo, 0x3f2aaaab, v5
	v_cndmask_b32_e64 v7, 1.0, 2.0, vcc_lo
	v_mul_f32_e32 v5, v5, v7
	s_delay_alu instid0(VALU_DEP_1) | instskip(SKIP_1) | instid1(VALU_DEP_2)
	v_add_f32_e32 v7, 1.0, v5
	v_add_f32_e32 v11, -1.0, v5
	v_rcp_f32_e32 v9, v7
	v_add_f32_e32 v15, -1.0, v7
	s_delay_alu instid0(VALU_DEP_1) | instskip(SKIP_2) | instid1(VALU_DEP_1)
	v_sub_f32_e32 v5, v5, v15
	s_waitcnt_depctr 0xfff
	v_mul_f32_e32 v13, v11, v9
	v_mul_f32_e32 v16, v7, v13
	s_delay_alu instid0(VALU_DEP_1) | instskip(NEXT) | instid1(VALU_DEP_1)
	v_fma_f32 v7, v13, v7, -v16
	v_fmac_f32_e32 v7, v13, v5
	s_delay_alu instid0(VALU_DEP_1) | instskip(SKIP_3) | instid1(VALU_DEP_3)
	v_add_f32_e32 v5, v16, v7
	v_rcp_f32_e32 v10, v8
	v_add_f32_e32 v12, -1.0, v6
	v_sub_f32_e32 v6, v6, v17
	v_sub_f32_e32 v15, v11, v5
	s_waitcnt_depctr 0xfff
	v_dual_sub_f32 v11, v11, v15 :: v_dual_mul_f32 v14, v12, v10
	s_delay_alu instid0(VALU_DEP_1) | instskip(NEXT) | instid1(VALU_DEP_1)
	v_mul_f32_e32 v18, v8, v14
	v_fma_f32 v8, v14, v8, -v18
	s_delay_alu instid0(VALU_DEP_1) | instskip(NEXT) | instid1(VALU_DEP_1)
	v_fmac_f32_e32 v8, v14, v6
	v_add_f32_e32 v6, v18, v8
	s_delay_alu instid0(VALU_DEP_1) | instskip(SKIP_1) | instid1(VALU_DEP_2)
	v_dual_sub_f32 v17, v12, v6 :: v_dual_sub_f32 v16, v5, v16
	v_sub_f32_e32 v5, v11, v5
	v_sub_f32_e32 v7, v16, v7
	s_delay_alu instid0(VALU_DEP_1) | instskip(NEXT) | instid1(VALU_DEP_1)
	v_add_f32_e32 v5, v7, v5
	v_dual_add_f32 v5, v15, v5 :: v_dual_sub_f32 v18, v6, v18
	s_delay_alu instid0(VALU_DEP_1) | instskip(NEXT) | instid1(VALU_DEP_1)
	v_mul_f32_e32 v7, v9, v5
	v_dual_sub_f32 v12, v12, v17 :: v_dual_add_f32 v9, v13, v7
	s_delay_alu instid0(VALU_DEP_3) | instskip(NEXT) | instid1(VALU_DEP_2)
	v_sub_f32_e32 v8, v18, v8
	v_dual_sub_f32 v6, v12, v6 :: v_dual_sub_f32 v11, v9, v13
	v_mul_f32_e32 v13, v9, v9
	s_delay_alu instid0(VALU_DEP_2) | instskip(NEXT) | instid1(VALU_DEP_2)
	v_sub_f32_e32 v11, v7, v11
	v_fma_f32 v15, v9, v9, -v13
	s_delay_alu instid0(VALU_DEP_2) | instskip(NEXT) | instid1(VALU_DEP_1)
	v_add_f32_e32 v16, v11, v11
	v_dual_add_f32 v6, v8, v6 :: v_dual_fmac_f32 v15, v9, v16
	s_delay_alu instid0(VALU_DEP_1) | instskip(NEXT) | instid1(VALU_DEP_1)
	v_add_f32_e32 v16, v13, v15
	v_dual_add_f32 v6, v17, v6 :: v_dual_fmaak_f32 v19, s9, v16, 0x3e91f4c4
	s_delay_alu instid0(VALU_DEP_1) | instskip(SKIP_2) | instid1(VALU_DEP_3)
	v_mul_f32_e32 v8, v10, v6
	v_cvt_f64_f32_e64 v[5:6], |v2|
	v_sub_f32_e32 v13, v16, v13
	v_dual_fmaak_f32 v19, v16, v19, 0x3ecccdef :: v_dual_add_f32 v10, v14, v8
	s_delay_alu instid0(VALU_DEP_1) | instskip(SKIP_1) | instid1(VALU_DEP_1)
	v_dual_mul_f32 v21, v16, v19 :: v_dual_sub_f32 v12, v10, v14
	v_mul_f32_e32 v14, v10, v10
	v_fma_f32 v17, v10, v10, -v14
	s_delay_alu instid0(VALU_DEP_3) | instskip(SKIP_4) | instid1(VALU_DEP_1)
	v_sub_f32_e32 v12, v8, v12
	v_cvt_f64_f32_e32 v[7:8], v3
	v_frexp_exp_i32_f64_e32 v5, v[5:6]
	v_sub_f32_e32 v6, v15, v13
	v_fma_f32 v13, v16, v19, -v21
	v_dual_add_f32 v18, v12, v12 :: v_dual_fmac_f32 v13, v6, v19
	s_delay_alu instid0(VALU_DEP_1) | instskip(NEXT) | instid1(VALU_DEP_1)
	v_fmac_f32_e32 v17, v10, v18
	v_add_f32_e32 v18, v14, v17
	v_frexp_exp_i32_f64_e32 v7, v[7:8]
	s_delay_alu instid0(VALU_DEP_2) | instskip(SKIP_1) | instid1(VALU_DEP_2)
	v_fmaak_f32 v20, s9, v18, 0x3e91f4c4
	v_sub_f32_e32 v14, v18, v14
	v_fmaak_f32 v20, v18, v20, 0x3ecccdef
	s_delay_alu instid0(VALU_DEP_2) | instskip(NEXT) | instid1(VALU_DEP_2)
	v_sub_f32_e32 v14, v17, v14
	v_mul_f32_e32 v22, v18, v20
	s_delay_alu instid0(VALU_DEP_1) | instskip(NEXT) | instid1(VALU_DEP_1)
	v_fma_f32 v15, v18, v20, -v22
	v_dual_fmac_f32 v15, v14, v20 :: v_dual_add_f32 v20, v21, v13
	v_subrev_co_ci_u32_e32 v5, vcc_lo, 0, v5, vcc_lo
	s_delay_alu instid0(VALU_DEP_2) | instskip(SKIP_2) | instid1(VALU_DEP_4)
	v_sub_f32_e32 v21, v20, v21
	v_mul_f32_e32 v17, v9, v16
	v_add_f32_e32 v23, 0x3f2aaaaa, v20
	v_cvt_f32_i32_e32 v5, v5
	s_delay_alu instid0(VALU_DEP_4) | instskip(NEXT) | instid1(VALU_DEP_4)
	v_sub_f32_e32 v13, v13, v21
	v_fma_f32 v19, v16, v9, -v17
	s_delay_alu instid0(VALU_DEP_4) | instskip(NEXT) | instid1(VALU_DEP_3)
	v_add_f32_e32 v21, 0xbf2aaaaa, v23
	v_dual_add_f32 v8, v22, v15 :: v_dual_add_f32 v13, 0x31739010, v13
	s_delay_alu instid0(VALU_DEP_3) | instskip(SKIP_1) | instid1(VALU_DEP_2)
	v_dual_fmac_f32 v19, v16, v11 :: v_dual_mul_f32 v16, v10, v18
	v_ldexp_f32 v11, v11, 1
	v_fma_f32 v25, v18, v10, -v16
	s_delay_alu instid0(VALU_DEP_1) | instskip(NEXT) | instid1(VALU_DEP_4)
	v_dual_fmac_f32 v25, v18, v12 :: v_dual_sub_f32 v22, v8, v22
	v_dual_fmac_f32 v19, v6, v9 :: v_dual_add_f32 v24, 0x3f2aaaaa, v8
	v_ldexp_f32 v12, v12, 1
	s_delay_alu instid0(VALU_DEP_3) | instskip(NEXT) | instid1(VALU_DEP_4)
	v_fmac_f32_e32 v25, v14, v10
	v_sub_f32_e32 v15, v15, v22
	s_delay_alu instid0(VALU_DEP_1) | instskip(NEXT) | instid1(VALU_DEP_1)
	v_dual_add_f32 v15, 0x31739010, v15 :: v_dual_sub_f32 v18, v20, v21
	v_add_f32_e32 v6, v13, v18
	v_dual_add_f32 v13, v17, v19 :: v_dual_add_f32 v22, 0xbf2aaaaa, v24
	s_delay_alu instid0(VALU_DEP_1) | instskip(NEXT) | instid1(VALU_DEP_1)
	v_dual_sub_f32 v17, v13, v17 :: v_dual_sub_f32 v8, v8, v22
	v_sub_f32_e32 v17, v19, v17
	s_delay_alu instid0(VALU_DEP_2) | instskip(NEXT) | instid1(VALU_DEP_1)
	v_add_f32_e32 v8, v15, v8
	v_dual_add_f32 v15, v23, v6 :: v_dual_add_f32 v18, v24, v8
	s_delay_alu instid0(VALU_DEP_1) | instskip(SKIP_1) | instid1(VALU_DEP_2)
	v_sub_f32_e32 v20, v23, v15
	v_mul_f32_e32 v23, v13, v15
	v_dual_sub_f32 v21, v24, v18 :: v_dual_add_f32 v6, v6, v20
	s_delay_alu instid0(VALU_DEP_1) | instskip(NEXT) | instid1(VALU_DEP_3)
	v_add_f32_e32 v8, v8, v21
	v_fma_f32 v21, v13, v15, -v23
	s_delay_alu instid0(VALU_DEP_1) | instskip(NEXT) | instid1(VALU_DEP_1)
	v_dual_add_f32 v14, v16, v25 :: v_dual_fmac_f32 v21, v13, v6
	v_sub_f32_e32 v16, v14, v16
	v_subrev_co_ci_u32_e64 v6, vcc_lo, 0, v7, s0
	v_mul_f32_e32 v7, 0x3f317218, v5
	s_delay_alu instid0(VALU_DEP_4) | instskip(NEXT) | instid1(VALU_DEP_3)
	v_dual_fmac_f32 v21, v17, v15 :: v_dual_mul_f32 v22, v14, v18
	v_cvt_f32_i32_e32 v6, v6
	v_cmp_eq_f32_e32 vcc_lo, 1.0, v0
	s_delay_alu instid0(VALU_DEP_4) | instskip(NEXT) | instid1(VALU_DEP_4)
	v_fma_f32 v13, 0x3f317218, v5, -v7
	v_fma_f32 v20, v14, v18, -v22
	s_delay_alu instid0(VALU_DEP_4) | instskip(NEXT) | instid1(VALU_DEP_2)
	v_mul_f32_e32 v15, 0x3f317218, v6
	v_dual_fmac_f32 v13, 0xb102e308, v5 :: v_dual_fmac_f32 v20, v14, v8
	v_add_f32_e32 v14, v23, v21
	v_sub_f32_e32 v16, v25, v16
	v_ldexp_f32 v8, v9, 1
	v_ldexp_f32 v9, v10, 1
	s_delay_alu instid0(VALU_DEP_4) | instskip(NEXT) | instid1(VALU_DEP_1)
	v_sub_f32_e32 v19, v14, v23
	v_sub_f32_e32 v19, v21, v19
	s_delay_alu instid0(VALU_DEP_1) | instskip(NEXT) | instid1(VALU_DEP_1)
	v_dual_add_f32 v11, v11, v19 :: v_dual_fmac_f32 v20, v16, v18
	v_add_f32_e32 v10, v22, v20
	s_delay_alu instid0(VALU_DEP_1) | instskip(NEXT) | instid1(VALU_DEP_1)
	v_add_f32_e32 v16, v9, v10
	v_sub_f32_e32 v9, v16, v9
	v_sub_f32_e32 v17, v10, v22
	s_delay_alu instid0(VALU_DEP_2) | instskip(NEXT) | instid1(VALU_DEP_2)
	v_sub_f32_e32 v9, v10, v9
	v_sub_f32_e32 v17, v20, v17
	v_fma_f32 v20, 0x3f317218, v6, -v15
	s_delay_alu instid0(VALU_DEP_2) | instskip(NEXT) | instid1(VALU_DEP_2)
	v_add_f32_e32 v10, v12, v17
	v_fmac_f32_e32 v20, 0xb102e308, v6
	s_delay_alu instid0(VALU_DEP_2) | instskip(NEXT) | instid1(VALU_DEP_2)
	v_dual_add_f32 v18, v8, v14 :: v_dual_add_f32 v5, v10, v9
	v_add_f32_e32 v9, v15, v20
	s_delay_alu instid0(VALU_DEP_2) | instskip(NEXT) | instid1(VALU_DEP_3)
	v_sub_f32_e32 v8, v18, v8
	v_add_f32_e32 v10, v16, v5
	s_delay_alu instid0(VALU_DEP_1) | instskip(NEXT) | instid1(VALU_DEP_3)
	v_add_f32_e32 v12, v9, v10
	v_sub_f32_e32 v8, v14, v8
	s_delay_alu instid0(VALU_DEP_1) | instskip(SKIP_1) | instid1(VALU_DEP_1)
	v_add_f32_e32 v6, v11, v8
	v_add_f32_e32 v8, v7, v13
	v_sub_f32_e32 v7, v8, v7
	s_delay_alu instid0(VALU_DEP_1) | instskip(SKIP_2) | instid1(VALU_DEP_2)
	v_sub_f32_e32 v7, v13, v7
	v_sub_f32_e32 v13, v9, v15
	;; [unrolled: 1-line block ×4, first 2 shown]
	s_delay_alu instid0(VALU_DEP_2) | instskip(SKIP_1) | instid1(VALU_DEP_2)
	v_sub_f32_e32 v19, v12, v15
	v_add_f32_e32 v11, v18, v6
	v_sub_f32_e32 v9, v9, v19
	s_delay_alu instid0(VALU_DEP_2) | instskip(NEXT) | instid1(VALU_DEP_1)
	v_dual_sub_f32 v17, v11, v18 :: v_dual_sub_f32 v16, v10, v16
	v_dual_add_f32 v14, v8, v11 :: v_dual_sub_f32 v5, v5, v16
	s_delay_alu instid0(VALU_DEP_1) | instskip(NEXT) | instid1(VALU_DEP_2)
	v_sub_f32_e32 v18, v14, v8
	v_dual_sub_f32 v10, v10, v15 :: v_dual_add_f32 v15, v13, v5
	s_delay_alu instid0(VALU_DEP_2) | instskip(SKIP_1) | instid1(VALU_DEP_3)
	v_dual_sub_f32 v6, v6, v17 :: v_dual_sub_f32 v11, v11, v18
	v_sub_f32_e32 v17, v14, v18
	v_add_f32_e32 v9, v10, v9
	s_delay_alu instid0(VALU_DEP_2) | instskip(NEXT) | instid1(VALU_DEP_1)
	v_sub_f32_e32 v8, v8, v17
	v_add_f32_e32 v8, v11, v8
	v_sub_f32_e32 v11, v15, v13
	s_delay_alu instid0(VALU_DEP_4) | instskip(NEXT) | instid1(VALU_DEP_2)
	v_add_f32_e32 v9, v15, v9
	v_sub_f32_e32 v15, v15, v11
	s_delay_alu instid0(VALU_DEP_2) | instskip(NEXT) | instid1(VALU_DEP_1)
	v_dual_add_f32 v10, v7, v6 :: v_dual_add_f32 v17, v12, v9
	v_sub_f32_e32 v16, v10, v7
	v_dual_add_f32 v8, v10, v8 :: v_dual_sub_f32 v5, v5, v11
	s_delay_alu instid0(VALU_DEP_2) | instskip(NEXT) | instid1(VALU_DEP_2)
	v_dual_sub_f32 v11, v13, v15 :: v_dual_sub_f32 v10, v10, v16
	v_add_f32_e32 v18, v14, v8
	s_delay_alu instid0(VALU_DEP_2) | instskip(NEXT) | instid1(VALU_DEP_3)
	v_dual_sub_f32 v6, v6, v16 :: v_dual_add_f32 v5, v5, v11
	v_sub_f32_e32 v7, v7, v10
	s_delay_alu instid0(VALU_DEP_3) | instskip(SKIP_1) | instid1(VALU_DEP_2)
	v_sub_f32_e32 v10, v18, v14
	v_sub_f32_e32 v12, v17, v12
	v_dual_add_f32 v6, v6, v7 :: v_dual_sub_f32 v7, v8, v10
	s_delay_alu instid0(VALU_DEP_2) | instskip(SKIP_2) | instid1(VALU_DEP_3)
	v_sub_f32_e32 v9, v9, v12
	v_cndmask_b32_e64 v8, 2.0, 1.0, vcc_lo
	v_cmp_eq_f32_e32 vcc_lo, 1.0, v2
	v_dual_add_f32 v5, v5, v9 :: v_dual_add_f32 v6, v6, v7
	v_cndmask_b32_e64 v10, 2.0, 1.0, vcc_lo
	s_delay_alu instid0(VALU_DEP_4) | instskip(NEXT) | instid1(VALU_DEP_3)
	v_trunc_f32_e32 v24, v8
	v_add_f32_e32 v7, v17, v5
	s_delay_alu instid0(VALU_DEP_4) | instskip(NEXT) | instid1(VALU_DEP_4)
	v_add_f32_e32 v9, v18, v6
	v_mul_f32_e32 v22, 0.5, v10
	s_delay_alu instid0(VALU_DEP_4) | instskip(NEXT) | instid1(VALU_DEP_4)
	v_cmp_eq_f32_e64 s1, v24, v8
	v_dual_mul_f32 v12, v8, v7 :: v_dual_sub_f32 v11, v7, v17
	s_delay_alu instid0(VALU_DEP_4) | instskip(SKIP_1) | instid1(VALU_DEP_3)
	v_dual_sub_f32 v13, v9, v18 :: v_dual_mul_f32 v14, v10, v9
	v_trunc_f32_e32 v18, v10
	v_fma_f32 v7, v8, v7, -v12
	s_delay_alu instid0(VALU_DEP_3) | instskip(NEXT) | instid1(VALU_DEP_4)
	v_dual_sub_f32 v5, v5, v11 :: v_dual_sub_f32 v6, v6, v13
	v_fma_f32 v9, v10, v9, -v14
	v_cmp_class_f32_e64 vcc_lo, v12, 0x204
	v_cmp_eq_f32_e64 s0, v18, v10
	v_trunc_f32_e32 v28, v22
	s_delay_alu instid0(VALU_DEP_4) | instskip(NEXT) | instid1(VALU_DEP_1)
	v_fmac_f32_e32 v9, v10, v6
	v_add_f32_e32 v6, v14, v9
	v_fmac_f32_e32 v7, v8, v5
	s_delay_alu instid0(VALU_DEP_1) | instskip(NEXT) | instid1(VALU_DEP_1)
	v_add_f32_e32 v5, v12, v7
	v_cndmask_b32_e32 v11, v5, v12, vcc_lo
	v_cmp_class_f32_e64 vcc_lo, v14, 0x204
	s_delay_alu instid0(VALU_DEP_2) | instskip(SKIP_4) | instid1(VALU_DEP_4)
	v_cmp_neq_f32_e64 s3, 0x7f800000, |v11|
	v_cndmask_b32_e32 v13, v6, v14, vcc_lo
	v_cmp_eq_f32_e32 vcc_lo, 0x42b17218, v11
	v_sub_f32_e32 v6, v6, v14
	v_cndmask_b32_e64 v15, 0, 0x37000000, vcc_lo
	v_cmp_eq_f32_e32 vcc_lo, 0x42b17218, v13
	s_delay_alu instid0(VALU_DEP_2) | instskip(SKIP_2) | instid1(VALU_DEP_3)
	v_sub_f32_e32 v17, v11, v15
	v_cndmask_b32_e64 v16, 0, 0x37000000, vcc_lo
	v_cmp_eq_f32_e32 vcc_lo, 0, v2
	v_mul_f32_e32 v20, 0x3fb8aa3b, v17
	v_sub_f32_e32 v6, v9, v6
	v_cndmask_b32_e64 v21, 0x7f800000, 0, vcc_lo
	s_or_b32 vcc_lo, vcc_lo, s12
	s_delay_alu instid0(VALU_DEP_3) | instskip(SKIP_1) | instid1(VALU_DEP_1)
	v_fma_f32 v10, 0x3fb8aa3b, v17, -v20
	v_rndne_f32_e32 v18, v20
	v_sub_f32_e32 v20, v20, v18
	s_delay_alu instid0(VALU_DEP_3) | instskip(NEXT) | instid1(VALU_DEP_1)
	v_dual_fmac_f32 v10, 0x32a5705f, v17 :: v_dual_sub_f32 v19, v13, v16
	v_dual_sub_f32 v5, v5, v12 :: v_dual_add_f32 v10, v20, v10
	s_delay_alu instid0(VALU_DEP_2) | instskip(NEXT) | instid1(VALU_DEP_2)
	v_mul_f32_e32 v23, 0x3fb8aa3b, v19
	v_sub_f32_e32 v5, v7, v5
	v_cvt_i32_f32_e32 v7, v18
	s_delay_alu instid0(VALU_DEP_4) | instskip(NEXT) | instid1(VALU_DEP_3)
	v_exp_f32_e32 v10, v10
	v_fma_f32 v25, 0x3fb8aa3b, v19, -v23
	v_rndne_f32_e32 v26, v23
	v_cndmask_b32_e64 v5, 0, v5, s3
	s_delay_alu instid0(VALU_DEP_3) | instskip(NEXT) | instid1(VALU_DEP_3)
	v_fmac_f32_e32 v25, 0x32a5705f, v19
	v_sub_f32_e32 v23, v23, v26
	v_cvt_i32_f32_e32 v9, v26
	s_delay_alu instid0(VALU_DEP_4) | instskip(NEXT) | instid1(TRANS32_DEP_1)
	v_add_f32_e32 v5, v15, v5
	v_ldexp_f32 v7, v10, v7
	s_delay_alu instid0(VALU_DEP_4) | instskip(SKIP_1) | instid1(VALU_DEP_1)
	v_add_f32_e32 v20, v23, v25
	v_cmp_neq_f32_e64 s3, 0x7f800000, |v13|
	v_cndmask_b32_e64 v6, 0, v6, s3
	v_mul_f32_e32 v27, 0.5, v8
	v_cmp_ngt_f32_e64 s3, 0xc2ce8ed0, v17
	s_delay_alu instid0(VALU_DEP_3) | instskip(NEXT) | instid1(VALU_DEP_3)
	v_add_f32_e32 v6, v16, v6
	v_trunc_f32_e32 v8, v27
	s_delay_alu instid0(VALU_DEP_3) | instskip(SKIP_1) | instid1(VALU_DEP_3)
	v_cndmask_b32_e64 v7, 0, v7, s3
	v_cmp_ngt_f32_e64 s3, 0xc2ce8ed0, v19
	v_cmp_neq_f32_e64 s2, v8, v27
	v_exp_f32_e32 v8, v20
	s_delay_alu instid0(VALU_DEP_1) | instskip(SKIP_3) | instid1(VALU_DEP_2)
	s_and_b32 s2, s1, s2
	s_waitcnt_depctr 0xfff
	v_ldexp_f32 v8, v8, v9
	v_cndmask_b32_e64 v9, 1.0, v0, s2
	v_cndmask_b32_e64 v8, 0, v8, s3
	v_cmp_nlt_f32_e64 s3, 0x42b17218, v17
	s_delay_alu instid0(VALU_DEP_1) | instskip(SKIP_1) | instid1(VALU_DEP_2)
	v_cndmask_b32_e64 v7, 0x7f800000, v7, s3
	v_cmp_nlt_f32_e64 s3, 0x42b17218, v19
	v_fma_f32 v5, v7, v5, v7
	s_delay_alu instid0(VALU_DEP_2) | instskip(SKIP_2) | instid1(VALU_DEP_3)
	v_cndmask_b32_e64 v8, 0x7f800000, v8, s3
	v_cmp_class_f32_e64 s4, v7, 0x204
	v_cmp_neq_f32_e64 s3, v28, v22
	v_fma_f32 v6, v8, v6, v8
	s_delay_alu instid0(VALU_DEP_3) | instskip(SKIP_1) | instid1(VALU_DEP_4)
	v_cndmask_b32_e64 v5, v5, v7, s4
	v_cmp_class_f32_e64 s4, v8, 0x204
	s_and_b32 s3, s0, s3
	s_delay_alu instid0(SALU_CYCLE_1) | instskip(NEXT) | instid1(VALU_DEP_3)
	v_cndmask_b32_e64 v7, 1.0, v2, s3
	v_bfi_b32 v5, 0x7fffffff, v5, v9
	s_delay_alu instid0(VALU_DEP_3) | instskip(SKIP_2) | instid1(VALU_DEP_4)
	v_cndmask_b32_e64 v6, v6, v8, s4
	v_cmp_eq_f32_e64 s4, 0, v0
	v_cndmask_b32_e64 v9, 0, v0, s2
	v_cndmask_b32_e64 v10, 0x7fc00000, v5, s1
	s_delay_alu instid0(VALU_DEP_4) | instskip(NEXT) | instid1(VALU_DEP_4)
	v_bfi_b32 v6, 0x7fffffff, v6, v7
	v_cndmask_b32_e64 v8, 0x7f800000, 0, s4
	v_cmp_eq_f32_e64 s1, 0x7f800000, v3
	v_cndmask_b32_e64 v7, 0, v2, s3
	s_delay_alu instid0(VALU_DEP_3) | instskip(SKIP_2) | instid1(VALU_DEP_4)
	v_bfi_b32 v3, 0x7fffffff, v8, v9
	v_cndmask_b32_e64 v8, 0x7fc00000, v6, s0
	v_cmp_gt_f32_e64 s0, 0, v0
	v_bfi_b32 v7, 0x7fffffff, v21, v7
	s_delay_alu instid0(VALU_DEP_2) | instskip(SKIP_1) | instid1(VALU_DEP_1)
	v_cndmask_b32_e64 v5, v5, v10, s0
	v_cmp_gt_f32_e64 s0, 0, v2
	v_cndmask_b32_e64 v6, v6, v8, s0
	s_or_b32 s0, s4, s1
	s_cmpk_lg_i32 s10, 0x74
	v_cndmask_b32_e64 v3, v5, v3, s0
	s_delay_alu instid0(VALU_DEP_2) | instskip(SKIP_1) | instid1(VALU_DEP_3)
	v_cndmask_b32_e32 v5, v6, v7, vcc_lo
	v_cmp_o_f32_e32 vcc_lo, v2, v2
	v_fma_f32 v3, 0x41200000, v3, 1.0
	s_delay_alu instid0(VALU_DEP_3) | instskip(SKIP_1) | instid1(VALU_DEP_3)
	v_cndmask_b32_e32 v2, 0x7fc00000, v5, vcc_lo
	v_cmp_o_f32_e32 vcc_lo, v0, v0
	v_cndmask_b32_e32 v0, 0x7fc00000, v3, vcc_lo
	s_delay_alu instid0(VALU_DEP_1)
	v_fmac_f32_e32 v4, v2, v0
	s_cbranch_scc0 .LBB1_32
.LBB1_28:                               ; =>This Inner Loop Header: Depth=1
	s_add_i32 s0, s10, 0
                                        ; implicit-def: $vgpr6
	s_mov_b32 s1, exec_lo
	scratch_load_b64 v[2:3], off, s0
	s_waitcnt vmcnt(0)
	v_add_f32_e32 v0, -1.0, v3
	s_delay_alu instid0(VALU_DEP_1) | instskip(NEXT) | instid1(VALU_DEP_1)
	v_fma_f32 v0, 0x3e800000, v0, 1.0
	v_mul_f32_e32 v3, 0x40490e56, v0
                                        ; implicit-def: $vgpr0
	s_delay_alu instid0(VALU_DEP_1)
	v_and_b32_e32 v5, 0x7fffffff, v3
	v_cmpx_ngt_f32_e64 0x48000000, |v3|
	s_xor_b32 s3, exec_lo, s1
	s_cbranch_execz .LBB1_30
; %bb.29:                               ;   in Loop: Header=BB1_28 Depth=1
	s_delay_alu instid0(VALU_DEP_2) | instskip(SKIP_1) | instid1(VALU_DEP_2)
	v_lshrrev_b32_e32 v11, 23, v5
	v_and_or_b32 v14, v5, s11, 0x800000
	v_add_nc_u32_e32 v12, 0xffffff88, v11
	s_delay_alu instid0(VALU_DEP_2) | instskip(NEXT) | instid1(VALU_DEP_2)
	v_mad_u64_u32 v[6:7], null, 0xfe5163ab, v14, 0
	v_cmp_lt_u32_e32 vcc_lo, 63, v12
	v_cndmask_b32_e64 v13, 0, 0xffffffc0, vcc_lo
	s_delay_alu instid0(VALU_DEP_1) | instskip(NEXT) | instid1(VALU_DEP_1)
	v_dual_mov_b32 v0, v7 :: v_dual_add_nc_u32 v13, v13, v12
	v_mad_u64_u32 v[7:8], null, 0x3c439041, v14, v[0:1]
	s_delay_alu instid0(VALU_DEP_2) | instskip(NEXT) | instid1(VALU_DEP_1)
	v_cmp_lt_u32_e64 s0, 31, v13
	v_cndmask_b32_e64 v15, 0, 0xffffffe0, s0
	s_delay_alu instid0(VALU_DEP_1) | instskip(NEXT) | instid1(VALU_DEP_1)
	v_dual_mov_b32 v0, v8 :: v_dual_add_nc_u32 v15, v15, v13
	v_mad_u64_u32 v[8:9], null, 0xdb629599, v14, v[0:1]
	s_delay_alu instid0(VALU_DEP_2) | instskip(NEXT) | instid1(VALU_DEP_2)
	v_cmp_lt_u32_e64 s1, 31, v15
	v_mov_b32_e32 v0, v9
	s_delay_alu instid0(VALU_DEP_3) | instskip(NEXT) | instid1(VALU_DEP_2)
	v_cndmask_b32_e32 v6, v8, v6, vcc_lo
	v_mad_u64_u32 v[9:10], null, 0xf534ddc0, v14, v[0:1]
	s_delay_alu instid0(VALU_DEP_1) | instskip(NEXT) | instid1(VALU_DEP_1)
	v_dual_mov_b32 v0, v10 :: v_dual_cndmask_b32 v7, v9, v7
	v_mad_u64_u32 v[10:11], null, 0xfc2757d1, v14, v[0:1]
	s_delay_alu instid0(VALU_DEP_2) | instskip(NEXT) | instid1(VALU_DEP_2)
	v_cndmask_b32_e64 v6, v7, v6, s0
	v_mov_b32_e32 v0, v11
	s_delay_alu instid0(VALU_DEP_1) | instskip(NEXT) | instid1(VALU_DEP_1)
	v_mad_u64_u32 v[11:12], null, 0x4e441529, v14, v[0:1]
	v_mov_b32_e32 v0, v12
	s_delay_alu instid0(VALU_DEP_1) | instskip(SKIP_1) | instid1(VALU_DEP_4)
	v_mad_u64_u32 v[12:13], null, 0xa2f9836e, v14, v[0:1]
	v_cndmask_b32_e64 v0, 0, 0xffffffe0, s1
	v_cndmask_b32_e32 v14, v11, v9, vcc_lo
	s_delay_alu instid0(VALU_DEP_2) | instskip(NEXT) | instid1(VALU_DEP_4)
	v_add_nc_u32_e32 v0, v0, v15
	v_dual_cndmask_b32 v12, v12, v10 :: v_dual_cndmask_b32 v11, v13, v11
	v_cndmask_b32_e32 v10, v10, v8, vcc_lo
	s_delay_alu instid0(VALU_DEP_3) | instskip(NEXT) | instid1(VALU_DEP_3)
	v_sub_nc_u32_e32 v13, 32, v0
	v_cndmask_b32_e64 v9, v12, v14, s0
	s_delay_alu instid0(VALU_DEP_4) | instskip(NEXT) | instid1(VALU_DEP_4)
	v_cndmask_b32_e64 v11, v11, v12, s0
	v_cndmask_b32_e64 v12, v14, v10, s0
	;; [unrolled: 1-line block ×3, first 2 shown]
	v_cmp_eq_u32_e64 s2, 0, v0
	s_delay_alu instid0(VALU_DEP_4) | instskip(NEXT) | instid1(VALU_DEP_4)
	v_cndmask_b32_e64 v11, v11, v9, s1
	v_cndmask_b32_e64 v9, v9, v12, s1
	s_delay_alu instid0(VALU_DEP_4) | instskip(SKIP_1) | instid1(VALU_DEP_3)
	v_cndmask_b32_e64 v12, v12, v10, s1
	v_cndmask_b32_e64 v6, v10, v6, s1
	v_alignbit_b32 v14, v11, v9, v13
	s_delay_alu instid0(VALU_DEP_3) | instskip(NEXT) | instid1(VALU_DEP_3)
	v_alignbit_b32 v15, v9, v12, v13
	v_alignbit_b32 v13, v12, v6, v13
	s_delay_alu instid0(VALU_DEP_3) | instskip(NEXT) | instid1(VALU_DEP_3)
	v_cndmask_b32_e64 v0, v14, v11, s2
	v_cndmask_b32_e64 v8, v15, v9, s2
	s_delay_alu instid0(VALU_DEP_3) | instskip(NEXT) | instid1(VALU_DEP_3)
	v_cndmask_b32_e64 v12, v13, v12, s2
	v_bfe_u32 v9, v0, 29, 1
	s_delay_alu instid0(VALU_DEP_3) | instskip(NEXT) | instid1(VALU_DEP_3)
	v_alignbit_b32 v7, v0, v8, 30
	v_alignbit_b32 v8, v8, v12, 30
	;; [unrolled: 1-line block ×3, first 2 shown]
	s_delay_alu instid0(VALU_DEP_4) | instskip(NEXT) | instid1(VALU_DEP_1)
	v_sub_nc_u32_e32 v11, 0, v9
	v_xor_b32_e32 v10, v7, v11
	v_cmp_ne_u32_e32 vcc_lo, v7, v11
	v_xor_b32_e32 v8, v8, v11
	v_xor_b32_e32 v6, v6, v11
	s_delay_alu instid0(VALU_DEP_4) | instskip(NEXT) | instid1(VALU_DEP_1)
	v_clz_i32_u32_e32 v14, v10
	v_add_nc_u32_e32 v13, 1, v14
	s_delay_alu instid0(VALU_DEP_1) | instskip(NEXT) | instid1(VALU_DEP_1)
	v_cndmask_b32_e32 v7, 33, v13, vcc_lo
	v_sub_nc_u32_e32 v12, 32, v7
	s_delay_alu instid0(VALU_DEP_1) | instskip(SKIP_2) | instid1(VALU_DEP_2)
	v_alignbit_b32 v10, v10, v8, v12
	v_alignbit_b32 v6, v8, v6, v12
	v_lshrrev_b32_e32 v8, 29, v0
	v_alignbit_b32 v11, v10, v6, 9
	s_delay_alu instid0(VALU_DEP_2) | instskip(SKIP_1) | instid1(VALU_DEP_3)
	v_lshlrev_b32_e32 v8, 31, v8
	v_alignbit_b32 v10, v7, v10, 9
	v_clz_i32_u32_e32 v12, v11
	s_delay_alu instid0(VALU_DEP_2) | instskip(SKIP_1) | instid1(VALU_DEP_3)
	v_or_b32_e32 v10, v10, v8
	v_or_b32_e32 v8, 0x33800000, v8
	v_min_u32_e32 v12, 32, v12
	s_delay_alu instid0(VALU_DEP_3) | instskip(NEXT) | instid1(VALU_DEP_2)
	v_xor_b32_e32 v10, 1.0, v10
	v_sub_nc_u32_e32 v13, 31, v12
	v_add_lshl_u32 v7, v12, v7, 23
	s_delay_alu instid0(VALU_DEP_3) | instskip(NEXT) | instid1(VALU_DEP_3)
	v_mul_f32_e32 v12, 0x3fc90fda, v10
	v_alignbit_b32 v6, v11, v6, v13
	s_delay_alu instid0(VALU_DEP_3) | instskip(NEXT) | instid1(VALU_DEP_3)
	v_sub_nc_u32_e32 v7, v8, v7
	v_fma_f32 v8, 0x3fc90fda, v10, -v12
	s_delay_alu instid0(VALU_DEP_3) | instskip(NEXT) | instid1(VALU_DEP_2)
	v_lshrrev_b32_e32 v6, 9, v6
	v_fmac_f32_e32 v8, 0x33a22168, v10
	s_delay_alu instid0(VALU_DEP_2) | instskip(NEXT) | instid1(VALU_DEP_1)
	v_or_b32_e32 v6, v7, v6
	v_fmac_f32_e32 v8, 0x3fc90fda, v6
	v_lshrrev_b32_e32 v6, 30, v0
	s_delay_alu instid0(VALU_DEP_2) | instskip(NEXT) | instid1(VALU_DEP_2)
	v_add_f32_e32 v0, v12, v8
	v_add_nc_u32_e32 v6, v9, v6
.LBB1_30:                               ;   in Loop: Header=BB1_28 Depth=1
	s_and_not1_saveexec_b32 s0, s3
	s_cbranch_execz .LBB1_27
; %bb.31:                               ;   in Loop: Header=BB1_28 Depth=1
	v_mul_f32_e64 v0, 0x3f22f983, |v3|
	s_delay_alu instid0(VALU_DEP_1) | instskip(NEXT) | instid1(VALU_DEP_1)
	v_rndne_f32_e32 v6, v0
	v_fma_f32 v0, 0xbfc90fda, v6, |v3|
	s_delay_alu instid0(VALU_DEP_1) | instskip(NEXT) | instid1(VALU_DEP_1)
	v_fmac_f32_e32 v0, 0xb3a22168, v6
	v_fmac_f32_e32 v0, 0xa7c234c4, v6
	v_cvt_i32_f32_e32 v6, v6
	s_branch .LBB1_27
.LBB1_32:
	s_delay_alu instid0(VALU_DEP_1)
	v_cmp_gt_f32_e32 vcc_lo, 0x43020000, v4
	s_and_b32 exec_lo, exec_lo, vcc_lo
	s_cbranch_execz .LBB1_212
; %bb.33:
	scratch_load_b32 v0, off, off
	v_bfrev_b32_e32 v2, 1
	s_mov_b32 s0, exec_lo
.LBB1_34:                               ; =>This Inner Loop Header: Depth=1
	s_delay_alu instid0(SALU_CYCLE_1) | instskip(SKIP_3) | instid1(SALU_CYCLE_1)
	s_ctz_i32_b32 s1, s0
	s_waitcnt vmcnt(0)
	v_readlane_b32 s2, v0, s1
	s_lshl_b32 s1, 1, s1
	s_and_not1_b32 s0, s0, s1
	s_delay_alu instid0(SALU_CYCLE_1) | instskip(NEXT) | instid1(VALU_DEP_1)
	s_cmp_lg_u32 s0, 0
	v_add_f32_e32 v2, s2, v2
	s_cbranch_scc1 .LBB1_34
; %bb.35:
	v_mbcnt_lo_u32_b32 v0, exec_lo, 0
	s_mov_b32 s1, 0
	s_mov_b32 s0, exec_lo
	s_delay_alu instid0(VALU_DEP_1)
	v_cmpx_eq_u32_e32 0, v0
	s_xor_b32 s0, exec_lo, s0
	s_cbranch_execz .LBB1_39
; %bb.36:
	s_waitcnt lgkmcnt(0)
	s_load_b32 s2, s[6:7], 0x0
	v_mov_b32_e32 v3, 0
	s_waitcnt lgkmcnt(0)
	v_mov_b32_e32 v1, s2
.LBB1_37:                               ; =>This Inner Loop Header: Depth=1
	s_delay_alu instid0(VALU_DEP_1)
	v_add_f32_e32 v0, v1, v2
	global_atomic_cmpswap_b32 v0, v3, v[0:1], s[6:7] glc
	s_waitcnt vmcnt(0)
	v_cmp_eq_u32_e32 vcc_lo, v0, v1
	v_mov_b32_e32 v1, v0
	s_or_b32 s1, vcc_lo, s1
	s_delay_alu instid0(SALU_CYCLE_1)
	s_and_not1_b32 exec_lo, exec_lo, s1
	s_cbranch_execnz .LBB1_37
; %bb.38:
	s_or_b32 exec_lo, exec_lo, s1
.LBB1_39:
	s_delay_alu instid0(SALU_CYCLE_1)
	s_or_b32 exec_lo, exec_lo, s0
	scratch_load_b32 v0, off, off offset:4
	v_bfrev_b32_e32 v2, 1
	s_mov_b32 s0, exec_lo
.LBB1_40:                               ; =>This Inner Loop Header: Depth=1
	s_delay_alu instid0(SALU_CYCLE_1) | instskip(SKIP_3) | instid1(SALU_CYCLE_1)
	s_ctz_i32_b32 s1, s0
	s_waitcnt vmcnt(0)
	v_readlane_b32 s2, v0, s1
	s_lshl_b32 s1, 1, s1
	s_and_not1_b32 s0, s0, s1
	s_delay_alu instid0(SALU_CYCLE_1) | instskip(NEXT) | instid1(VALU_DEP_1)
	s_cmp_lg_u32 s0, 0
	v_add_f32_e32 v2, s2, v2
	s_cbranch_scc1 .LBB1_40
; %bb.41:
	v_mbcnt_lo_u32_b32 v0, exec_lo, 0
	s_mov_b32 s1, 0
	s_mov_b32 s0, exec_lo
	s_delay_alu instid0(VALU_DEP_1)
	v_cmpx_eq_u32_e32 0, v0
	s_xor_b32 s0, exec_lo, s0
	s_cbranch_execz .LBB1_45
; %bb.42:
	s_waitcnt lgkmcnt(0)
	s_load_b32 s2, s[6:7], 0x4
	v_mov_b32_e32 v3, 0
	s_waitcnt lgkmcnt(0)
	v_mov_b32_e32 v1, s2
.LBB1_43:                               ; =>This Inner Loop Header: Depth=1
	s_delay_alu instid0(VALU_DEP_1)
	v_add_f32_e32 v0, v1, v2
	global_atomic_cmpswap_b32 v0, v3, v[0:1], s[6:7] offset:4 glc
	s_waitcnt vmcnt(0)
	v_cmp_eq_u32_e32 vcc_lo, v0, v1
	v_mov_b32_e32 v1, v0
	s_or_b32 s1, vcc_lo, s1
	s_delay_alu instid0(SALU_CYCLE_1)
	s_and_not1_b32 exec_lo, exec_lo, s1
	s_cbranch_execnz .LBB1_43
; %bb.44:
	s_or_b32 exec_lo, exec_lo, s1
.LBB1_45:
	s_delay_alu instid0(SALU_CYCLE_1)
	s_or_b32 exec_lo, exec_lo, s0
	scratch_load_b32 v0, off, off offset:8
	v_bfrev_b32_e32 v2, 1
	s_mov_b32 s0, exec_lo
.LBB1_46:                               ; =>This Inner Loop Header: Depth=1
	s_delay_alu instid0(SALU_CYCLE_1) | instskip(SKIP_3) | instid1(SALU_CYCLE_1)
	s_ctz_i32_b32 s1, s0
	s_waitcnt vmcnt(0)
	v_readlane_b32 s2, v0, s1
	s_lshl_b32 s1, 1, s1
	s_and_not1_b32 s0, s0, s1
	s_delay_alu instid0(SALU_CYCLE_1) | instskip(NEXT) | instid1(VALU_DEP_1)
	s_cmp_lg_u32 s0, 0
	v_add_f32_e32 v2, s2, v2
	s_cbranch_scc1 .LBB1_46
; %bb.47:
	v_mbcnt_lo_u32_b32 v0, exec_lo, 0
	s_mov_b32 s1, 0
	s_mov_b32 s0, exec_lo
	s_delay_alu instid0(VALU_DEP_1)
	v_cmpx_eq_u32_e32 0, v0
	s_xor_b32 s0, exec_lo, s0
	s_cbranch_execz .LBB1_51
; %bb.48:
	s_waitcnt lgkmcnt(0)
	s_load_b32 s2, s[6:7], 0x8
	v_mov_b32_e32 v3, 0
	s_waitcnt lgkmcnt(0)
	v_mov_b32_e32 v1, s2
.LBB1_49:                               ; =>This Inner Loop Header: Depth=1
	s_delay_alu instid0(VALU_DEP_1)
	v_add_f32_e32 v0, v1, v2
	global_atomic_cmpswap_b32 v0, v3, v[0:1], s[6:7] offset:8 glc
	s_waitcnt vmcnt(0)
	v_cmp_eq_u32_e32 vcc_lo, v0, v1
	v_mov_b32_e32 v1, v0
	s_or_b32 s1, vcc_lo, s1
	s_delay_alu instid0(SALU_CYCLE_1)
	s_and_not1_b32 exec_lo, exec_lo, s1
	s_cbranch_execnz .LBB1_49
; %bb.50:
	s_or_b32 exec_lo, exec_lo, s1
.LBB1_51:
	;; [unrolled: 44-line block ×10, first 2 shown]
	s_delay_alu instid0(SALU_CYCLE_1)
	s_or_b32 exec_lo, exec_lo, s0
	scratch_load_b32 v0, off, off offset:44
	v_bfrev_b32_e32 v2, 1
	s_mov_b32 s0, exec_lo
.LBB1_100:                              ; =>This Inner Loop Header: Depth=1
	s_delay_alu instid0(SALU_CYCLE_1) | instskip(SKIP_3) | instid1(SALU_CYCLE_1)
	s_ctz_i32_b32 s1, s0
	s_waitcnt vmcnt(0)
	v_readlane_b32 s2, v0, s1
	s_lshl_b32 s1, 1, s1
	s_and_not1_b32 s0, s0, s1
	s_delay_alu instid0(SALU_CYCLE_1) | instskip(NEXT) | instid1(VALU_DEP_1)
	s_cmp_lg_u32 s0, 0
	v_add_f32_e32 v2, s2, v2
	s_cbranch_scc1 .LBB1_100
; %bb.101:
	v_mbcnt_lo_u32_b32 v0, exec_lo, 0
	s_mov_b32 s1, 0
	s_mov_b32 s0, exec_lo
	s_delay_alu instid0(VALU_DEP_1)
	v_cmpx_eq_u32_e32 0, v0
	s_xor_b32 s0, exec_lo, s0
	s_cbranch_execz .LBB1_105
; %bb.102:
	s_waitcnt lgkmcnt(0)
	s_load_b32 s2, s[6:7], 0x2c
	v_mov_b32_e32 v3, 0
	s_waitcnt lgkmcnt(0)
	v_mov_b32_e32 v1, s2
.LBB1_103:                              ; =>This Inner Loop Header: Depth=1
	s_delay_alu instid0(VALU_DEP_1)
	v_add_f32_e32 v0, v1, v2
	global_atomic_cmpswap_b32 v0, v3, v[0:1], s[6:7] offset:44 glc
	s_waitcnt vmcnt(0)
	v_cmp_eq_u32_e32 vcc_lo, v0, v1
	v_mov_b32_e32 v1, v0
	s_or_b32 s1, vcc_lo, s1
	s_delay_alu instid0(SALU_CYCLE_1)
	s_and_not1_b32 exec_lo, exec_lo, s1
	s_cbranch_execnz .LBB1_103
; %bb.104:
	s_or_b32 exec_lo, exec_lo, s1
.LBB1_105:
	s_delay_alu instid0(SALU_CYCLE_1)
	s_or_b32 exec_lo, exec_lo, s0
	scratch_load_b32 v0, off, off offset:48
	v_bfrev_b32_e32 v2, 1
	s_mov_b32 s0, exec_lo
.LBB1_106:                              ; =>This Inner Loop Header: Depth=1
	s_delay_alu instid0(SALU_CYCLE_1) | instskip(SKIP_3) | instid1(SALU_CYCLE_1)
	s_ctz_i32_b32 s1, s0
	s_waitcnt vmcnt(0)
	v_readlane_b32 s2, v0, s1
	s_lshl_b32 s1, 1, s1
	s_and_not1_b32 s0, s0, s1
	s_delay_alu instid0(SALU_CYCLE_1) | instskip(NEXT) | instid1(VALU_DEP_1)
	s_cmp_lg_u32 s0, 0
	v_add_f32_e32 v2, s2, v2
	s_cbranch_scc1 .LBB1_106
; %bb.107:
	v_mbcnt_lo_u32_b32 v0, exec_lo, 0
	s_mov_b32 s1, 0
	s_mov_b32 s0, exec_lo
	s_delay_alu instid0(VALU_DEP_1)
	v_cmpx_eq_u32_e32 0, v0
	s_xor_b32 s0, exec_lo, s0
	s_cbranch_execz .LBB1_111
; %bb.108:
	s_waitcnt lgkmcnt(0)
	s_load_b32 s2, s[6:7], 0x30
	v_mov_b32_e32 v3, 0
	s_waitcnt lgkmcnt(0)
	v_mov_b32_e32 v1, s2
.LBB1_109:                              ; =>This Inner Loop Header: Depth=1
	s_delay_alu instid0(VALU_DEP_1)
	v_add_f32_e32 v0, v1, v2
	global_atomic_cmpswap_b32 v0, v3, v[0:1], s[6:7] offset:48 glc
	s_waitcnt vmcnt(0)
	v_cmp_eq_u32_e32 vcc_lo, v0, v1
	v_mov_b32_e32 v1, v0
	s_or_b32 s1, vcc_lo, s1
	s_delay_alu instid0(SALU_CYCLE_1)
	s_and_not1_b32 exec_lo, exec_lo, s1
	s_cbranch_execnz .LBB1_109
; %bb.110:
	s_or_b32 exec_lo, exec_lo, s1
.LBB1_111:
	;; [unrolled: 44-line block ×18, first 2 shown]
	s_delay_alu instid0(SALU_CYCLE_1)
	s_or_b32 exec_lo, exec_lo, s0
	scratch_load_b32 v0, off, off offset:116
	v_bfrev_b32_e32 v2, 1
	s_mov_b32 s0, exec_lo
.LBB1_208:                              ; =>This Inner Loop Header: Depth=1
	s_delay_alu instid0(SALU_CYCLE_1) | instskip(SKIP_3) | instid1(SALU_CYCLE_1)
	s_ctz_i32_b32 s1, s0
	s_waitcnt vmcnt(0)
	v_readlane_b32 s2, v0, s1
	s_lshl_b32 s1, 1, s1
	s_and_not1_b32 s0, s0, s1
	s_delay_alu instid0(SALU_CYCLE_1) | instskip(NEXT) | instid1(VALU_DEP_1)
	s_cmp_lg_u32 s0, 0
	v_add_f32_e32 v2, s2, v2
	s_cbranch_scc1 .LBB1_208
; %bb.209:
	v_mbcnt_lo_u32_b32 v0, exec_lo, 0
	s_mov_b32 s0, 0
	s_mov_b32 s1, exec_lo
	s_delay_alu instid0(VALU_DEP_1)
	v_cmpx_eq_u32_e32 0, v0
	s_xor_b32 s1, exec_lo, s1
	s_cbranch_execz .LBB1_212
; %bb.210:
	s_waitcnt lgkmcnt(0)
	s_load_b32 s1, s[6:7], 0x74
	v_mov_b32_e32 v3, 0
	s_waitcnt lgkmcnt(0)
	v_mov_b32_e32 v1, s1
.LBB1_211:                              ; =>This Inner Loop Header: Depth=1
	s_delay_alu instid0(VALU_DEP_1)
	v_add_f32_e32 v0, v1, v2
	global_atomic_cmpswap_b32 v0, v3, v[0:1], s[6:7] offset:116 glc
	s_waitcnt vmcnt(0)
	v_cmp_eq_u32_e32 vcc_lo, v0, v1
	v_mov_b32_e32 v1, v0
	s_or_b32 s0, vcc_lo, s0
	s_delay_alu instid0(SALU_CYCLE_1)
	s_and_not1_b32 exec_lo, exec_lo, s0
	s_cbranch_execnz .LBB1_211
.LBB1_212:
	s_endpgm
	.section	.rodata,"a",@progbits
	.p2align	6, 0x0
	.amdhsa_kernel _Z17kernelUpdatePBestPKfPfS1_i
		.amdhsa_group_segment_fixed_size 0
		.amdhsa_private_segment_fixed_size 256
		.amdhsa_kernarg_size 288
		.amdhsa_user_sgpr_count 15
		.amdhsa_user_sgpr_dispatch_ptr 0
		.amdhsa_user_sgpr_queue_ptr 0
		.amdhsa_user_sgpr_kernarg_segment_ptr 1
		.amdhsa_user_sgpr_dispatch_id 0
		.amdhsa_user_sgpr_private_segment_size 0
		.amdhsa_wavefront_size32 1
		.amdhsa_uses_dynamic_stack 0
		.amdhsa_enable_private_segment 1
		.amdhsa_system_sgpr_workgroup_id_x 1
		.amdhsa_system_sgpr_workgroup_id_y 0
		.amdhsa_system_sgpr_workgroup_id_z 0
		.amdhsa_system_sgpr_workgroup_info 0
		.amdhsa_system_vgpr_workitem_id 0
		.amdhsa_next_free_vgpr 60
		.amdhsa_next_free_sgpr 16
		.amdhsa_reserve_vcc 1
		.amdhsa_float_round_mode_32 0
		.amdhsa_float_round_mode_16_64 0
		.amdhsa_float_denorm_mode_32 3
		.amdhsa_float_denorm_mode_16_64 3
		.amdhsa_dx10_clamp 1
		.amdhsa_ieee_mode 1
		.amdhsa_fp16_overflow 0
		.amdhsa_workgroup_processor_mode 1
		.amdhsa_memory_ordered 1
		.amdhsa_forward_progress 0
		.amdhsa_shared_vgpr_count 0
		.amdhsa_exception_fp_ieee_invalid_op 0
		.amdhsa_exception_fp_denorm_src 0
		.amdhsa_exception_fp_ieee_div_zero 0
		.amdhsa_exception_fp_ieee_overflow 0
		.amdhsa_exception_fp_ieee_underflow 0
		.amdhsa_exception_fp_ieee_inexact 0
		.amdhsa_exception_int_div_zero 0
	.end_amdhsa_kernel
	.text
.Lfunc_end1:
	.size	_Z17kernelUpdatePBestPKfPfS1_i, .Lfunc_end1-_Z17kernelUpdatePBestPKfPfS1_i
                                        ; -- End function
	.section	.AMDGPU.csdata,"",@progbits
; Kernel info:
; codeLenInByte = 24064
; NumSgprs: 18
; NumVgprs: 60
; ScratchSize: 256
; MemoryBound: 0
; FloatMode: 240
; IeeeMode: 1
; LDSByteSize: 0 bytes/workgroup (compile time only)
; SGPRBlocks: 2
; VGPRBlocks: 7
; NumSGPRsForWavesPerEU: 18
; NumVGPRsForWavesPerEU: 60
; Occupancy: 16
; WaveLimiterHint : 0
; COMPUTE_PGM_RSRC2:SCRATCH_EN: 1
; COMPUTE_PGM_RSRC2:USER_SGPR: 15
; COMPUTE_PGM_RSRC2:TRAP_HANDLER: 0
; COMPUTE_PGM_RSRC2:TGID_X_EN: 1
; COMPUTE_PGM_RSRC2:TGID_Y_EN: 0
; COMPUTE_PGM_RSRC2:TGID_Z_EN: 0
; COMPUTE_PGM_RSRC2:TIDIG_COMP_CNT: 0
	.text
	.p2alignl 7, 3214868480
	.fill 96, 4, 3214868480
	.type	__hip_cuid_be22dba767856d17,@object ; @__hip_cuid_be22dba767856d17
	.section	.bss,"aw",@nobits
	.globl	__hip_cuid_be22dba767856d17
__hip_cuid_be22dba767856d17:
	.byte	0                               ; 0x0
	.size	__hip_cuid_be22dba767856d17, 1

	.ident	"AMD clang version 19.0.0git (https://github.com/RadeonOpenCompute/llvm-project roc-6.4.0 25133 c7fe45cf4b819c5991fe208aaa96edf142730f1d)"
	.section	".note.GNU-stack","",@progbits
	.addrsig
	.addrsig_sym __hip_cuid_be22dba767856d17
	.amdgpu_metadata
---
amdhsa.kernels:
  - .args:
      - .address_space:  global
        .offset:         0
        .size:           8
        .value_kind:     global_buffer
      - .address_space:  global
        .offset:         8
        .size:           8
        .value_kind:     global_buffer
      - .actual_access:  read_only
        .address_space:  global
        .offset:         16
        .size:           8
        .value_kind:     global_buffer
      - .actual_access:  read_only
        .address_space:  global
        .offset:         24
        .size:           8
        .value_kind:     global_buffer
      - .offset:         32
        .size:           4
        .value_kind:     by_value
      - .offset:         36
        .size:           4
        .value_kind:     by_value
      - .offset:         40
        .size:           4
        .value_kind:     by_value
      - .offset:         48
        .size:           4
        .value_kind:     hidden_block_count_x
      - .offset:         52
        .size:           4
        .value_kind:     hidden_block_count_y
      - .offset:         56
        .size:           4
        .value_kind:     hidden_block_count_z
      - .offset:         60
        .size:           2
        .value_kind:     hidden_group_size_x
      - .offset:         62
        .size:           2
        .value_kind:     hidden_group_size_y
      - .offset:         64
        .size:           2
        .value_kind:     hidden_group_size_z
      - .offset:         66
        .size:           2
        .value_kind:     hidden_remainder_x
      - .offset:         68
        .size:           2
        .value_kind:     hidden_remainder_y
      - .offset:         70
        .size:           2
        .value_kind:     hidden_remainder_z
      - .offset:         88
        .size:           8
        .value_kind:     hidden_global_offset_x
      - .offset:         96
        .size:           8
        .value_kind:     hidden_global_offset_y
      - .offset:         104
        .size:           8
        .value_kind:     hidden_global_offset_z
      - .offset:         112
        .size:           2
        .value_kind:     hidden_grid_dims
    .group_segment_fixed_size: 0
    .kernarg_segment_align: 8
    .kernarg_segment_size: 304
    .language:       OpenCL C
    .language_version:
      - 2
      - 0
    .max_flat_workgroup_size: 1024
    .name:           _Z20kernelUpdateParticlePfS_PKfS1_iff
    .private_segment_fixed_size: 0
    .sgpr_count:     18
    .sgpr_spill_count: 0
    .symbol:         _Z20kernelUpdateParticlePfS_PKfS1_iff.kd
    .uniform_work_group_size: 1
    .uses_dynamic_stack: false
    .vgpr_count:     9
    .vgpr_spill_count: 0
    .wavefront_size: 32
    .workgroup_processor_mode: 1
  - .args:
      - .actual_access:  read_only
        .address_space:  global
        .offset:         0
        .size:           8
        .value_kind:     global_buffer
      - .address_space:  global
        .offset:         8
        .size:           8
        .value_kind:     global_buffer
      - .address_space:  global
        .offset:         16
        .size:           8
        .value_kind:     global_buffer
      - .offset:         24
        .size:           4
        .value_kind:     by_value
      - .offset:         32
        .size:           4
        .value_kind:     hidden_block_count_x
      - .offset:         36
        .size:           4
        .value_kind:     hidden_block_count_y
      - .offset:         40
        .size:           4
        .value_kind:     hidden_block_count_z
      - .offset:         44
        .size:           2
        .value_kind:     hidden_group_size_x
      - .offset:         46
        .size:           2
        .value_kind:     hidden_group_size_y
      - .offset:         48
        .size:           2
        .value_kind:     hidden_group_size_z
      - .offset:         50
        .size:           2
        .value_kind:     hidden_remainder_x
      - .offset:         52
        .size:           2
        .value_kind:     hidden_remainder_y
      - .offset:         54
        .size:           2
        .value_kind:     hidden_remainder_z
      - .offset:         72
        .size:           8
        .value_kind:     hidden_global_offset_x
      - .offset:         80
        .size:           8
        .value_kind:     hidden_global_offset_y
      - .offset:         88
        .size:           8
        .value_kind:     hidden_global_offset_z
      - .offset:         96
        .size:           2
        .value_kind:     hidden_grid_dims
    .group_segment_fixed_size: 0
    .kernarg_segment_align: 8
    .kernarg_segment_size: 288
    .language:       OpenCL C
    .language_version:
      - 2
      - 0
    .max_flat_workgroup_size: 1024
    .name:           _Z17kernelUpdatePBestPKfPfS1_i
    .private_segment_fixed_size: 256
    .sgpr_count:     18
    .sgpr_spill_count: 0
    .symbol:         _Z17kernelUpdatePBestPKfPfS1_i.kd
    .uniform_work_group_size: 1
    .uses_dynamic_stack: false
    .vgpr_count:     60
    .vgpr_spill_count: 0
    .wavefront_size: 32
    .workgroup_processor_mode: 1
amdhsa.target:   amdgcn-amd-amdhsa--gfx1100
amdhsa.version:
  - 1
  - 2
...

	.end_amdgpu_metadata
